;; amdgpu-corpus repo=ROCm/rocFFT kind=compiled arch=gfx906 opt=O3
	.text
	.amdgcn_target "amdgcn-amd-amdhsa--gfx906"
	.amdhsa_code_object_version 6
	.protected	bluestein_single_fwd_len960_dim1_half_op_CI_CI ; -- Begin function bluestein_single_fwd_len960_dim1_half_op_CI_CI
	.globl	bluestein_single_fwd_len960_dim1_half_op_CI_CI
	.p2align	8
	.type	bluestein_single_fwd_len960_dim1_half_op_CI_CI,@function
bluestein_single_fwd_len960_dim1_half_op_CI_CI: ; @bluestein_single_fwd_len960_dim1_half_op_CI_CI
; %bb.0:
	s_load_dwordx4 s[0:3], s[4:5], 0x28
	v_mul_u32_u24_e32 v1, 0x19a, v0
	v_add_u32_sdwa v16, s6, v1 dst_sel:DWORD dst_unused:UNUSED_PAD src0_sel:DWORD src1_sel:WORD_1
	v_mov_b32_e32 v17, 0
	s_waitcnt lgkmcnt(0)
	v_cmp_gt_u64_e32 vcc, s[0:1], v[16:17]
	s_and_saveexec_b64 s[0:1], vcc
	s_cbranch_execz .LBB0_23
; %bb.1:
	s_load_dwordx2 s[6:7], s[4:5], 0x0
	s_load_dwordx2 s[12:13], s[4:5], 0x38
	s_movk_i32 s0, 0xa0
	v_mul_lo_u16_sdwa v1, v1, s0 dst_sel:DWORD dst_unused:UNUSED_PAD src0_sel:WORD_1 src1_sel:DWORD
	v_sub_u16_e32 v34, v0, v1
	v_cmp_gt_u16_e32 vcc, 60, v34
	v_lshlrev_b32_e32 v33, 2, v34
	s_and_saveexec_b64 s[8:9], vcc
	s_cbranch_execz .LBB0_3
; %bb.2:
	s_load_dwordx2 s[0:1], s[4:5], 0x18
	s_waitcnt lgkmcnt(0)
	s_load_dwordx4 s[16:19], s[0:1], 0x0
	s_waitcnt lgkmcnt(0)
	v_mad_u64_u32 v[0:1], s[0:1], s18, v16, 0
	v_mad_u64_u32 v[2:3], s[0:1], s16, v34, 0
	;; [unrolled: 1-line block ×4, first 2 shown]
	v_mov_b32_e32 v1, v4
	v_lshlrev_b64 v[0:1], 2, v[0:1]
	v_mov_b32_e32 v3, v5
	v_mov_b32_e32 v6, s3
	v_lshlrev_b64 v[2:3], 2, v[2:3]
	v_add_co_u32_e64 v0, s[0:1], s2, v0
	v_addc_co_u32_e64 v1, s[0:1], v6, v1, s[0:1]
	v_add_co_u32_e64 v0, s[0:1], v0, v2
	v_addc_co_u32_e64 v1, s[0:1], v1, v3, s[0:1]
	s_mul_i32 s0, s17, 0xf0
	s_mul_hi_u32 s2, s16, 0xf0
	s_add_i32 s2, s2, s0
	s_mul_i32 s3, s16, 0xf0
	v_mov_b32_e32 v3, s2
	v_add_co_u32_e64 v2, s[0:1], s3, v0
	v_addc_co_u32_e64 v3, s[0:1], v1, v3, s[0:1]
	global_load_dword v4, v[0:1], off
	global_load_dword v5, v[2:3], off
	global_load_dword v6, v33, s[6:7]
	global_load_dword v7, v33, s[6:7] offset:240
	v_mov_b32_e32 v1, s2
	v_add_co_u32_e64 v0, s[0:1], s3, v2
	v_addc_co_u32_e64 v1, s[0:1], v3, v1, s[0:1]
	global_load_dword v8, v[0:1], off
	global_load_dword v9, v33, s[6:7] offset:480
	v_mov_b32_e32 v2, s2
	v_add_co_u32_e64 v0, s[0:1], s3, v0
	v_addc_co_u32_e64 v1, s[0:1], v1, v2, s[0:1]
	global_load_dword v10, v[0:1], off
	global_load_dword v11, v33, s[6:7] offset:720
	global_load_dword v12, v33, s[6:7] offset:960
	;; [unrolled: 1-line block ×5, first 2 shown]
	v_add_co_u32_e64 v0, s[0:1], s3, v0
	v_addc_co_u32_e64 v1, s[0:1], v1, v2, s[0:1]
	v_mov_b32_e32 v3, s2
	v_add_co_u32_e64 v2, s[0:1], s3, v0
	global_load_dword v21, v[0:1], off
	v_addc_co_u32_e64 v3, s[0:1], v1, v3, s[0:1]
	v_mov_b32_e32 v17, s2
	v_add_co_u32_e64 v0, s[0:1], s3, v2
	v_addc_co_u32_e64 v1, s[0:1], v3, v17, s[0:1]
	global_load_dword v17, v[2:3], off
	v_mov_b32_e32 v18, s2
	v_add_co_u32_e64 v2, s[0:1], s3, v0
	v_addc_co_u32_e64 v3, s[0:1], v1, v18, s[0:1]
	global_load_dword v18, v[0:1], off
	v_mov_b32_e32 v19, s2
	v_add_co_u32_e64 v0, s[0:1], s3, v2
	v_addc_co_u32_e64 v1, s[0:1], v3, v19, s[0:1]
	global_load_dword v19, v[2:3], off
	global_load_dword v22, v[0:1], off
	v_mov_b32_e32 v20, s2
	v_add_co_u32_e64 v0, s[0:1], s3, v0
	v_addc_co_u32_e64 v1, s[0:1], v1, v20, s[0:1]
	v_mov_b32_e32 v27, s2
	v_mov_b32_e32 v28, s2
	s_waitcnt vmcnt(16)
	v_lshrrev_b32_e32 v2, 16, v4
	s_waitcnt vmcnt(15)
	v_lshrrev_b32_e32 v23, 16, v5
	s_waitcnt vmcnt(14)
	v_mul_f16_sdwa v3, v6, v4 dst_sel:DWORD dst_unused:UNUSED_PAD src0_sel:WORD_1 src1_sel:DWORD
	v_fma_f16 v3, v6, v2, -v3
	v_mul_f16_sdwa v2, v6, v2 dst_sel:DWORD dst_unused:UNUSED_PAD src0_sel:WORD_1 src1_sel:DWORD
	s_waitcnt vmcnt(13)
	v_mul_f16_sdwa v24, v7, v5 dst_sel:DWORD dst_unused:UNUSED_PAD src0_sel:WORD_1 src1_sel:DWORD
	v_fma_f16 v2, v6, v4, v2
	v_fma_f16 v4, v7, v23, -v24
	v_mul_f16_sdwa v6, v7, v23 dst_sel:DWORD dst_unused:UNUSED_PAD src0_sel:WORD_1 src1_sel:DWORD
	s_waitcnt vmcnt(12)
	v_lshrrev_b32_e32 v23, 16, v8
	s_waitcnt vmcnt(11)
	v_mul_f16_sdwa v24, v9, v8 dst_sel:DWORD dst_unused:UNUSED_PAD src0_sel:WORD_1 src1_sel:DWORD
	v_fma_f16 v5, v7, v5, v6
	v_fma_f16 v6, v9, v23, -v24
	v_mul_f16_sdwa v7, v9, v23 dst_sel:DWORD dst_unused:UNUSED_PAD src0_sel:WORD_1 src1_sel:DWORD
	v_pack_b32_f16 v2, v2, v3
	s_waitcnt vmcnt(10)
	v_lshrrev_b32_e32 v3, 16, v10
	s_waitcnt vmcnt(9)
	v_mul_f16_sdwa v23, v11, v10 dst_sel:DWORD dst_unused:UNUSED_PAD src0_sel:WORD_1 src1_sel:DWORD
	v_pack_b32_f16 v4, v5, v4
	v_fma_f16 v5, v11, v3, -v23
	v_mul_f16_sdwa v3, v11, v3 dst_sel:DWORD dst_unused:UNUSED_PAD src0_sel:WORD_1 src1_sel:DWORD
	ds_write2_b32 v33, v2, v4 offset1:60
	v_fma_f16 v2, v11, v10, v3
	global_load_dword v3, v33, s[6:7] offset:1920
	v_fma_f16 v7, v9, v8, v7
	global_load_dword v4, v[0:1], off
	global_load_dword v8, v33, s[6:7] offset:2160
	v_mov_b32_e32 v9, s2
	v_add_co_u32_e64 v0, s[0:1], s3, v0
	v_addc_co_u32_e64 v1, s[0:1], v1, v9, s[0:1]
	global_load_dword v9, v[0:1], off
	v_pack_b32_f16 v6, v7, v6
	global_load_dword v7, v33, s[6:7] offset:2400
	v_mov_b32_e32 v10, s2
	v_add_co_u32_e64 v0, s[0:1], s3, v0
	v_addc_co_u32_e64 v1, s[0:1], v1, v10, s[0:1]
	global_load_dword v10, v[0:1], off
	global_load_dword v11, v33, s[6:7] offset:2640
	global_load_dword v20, v33, s[6:7] offset:2880
	v_mov_b32_e32 v23, s2
	v_add_co_u32_e64 v0, s[0:1], s3, v0
	v_addc_co_u32_e64 v1, s[0:1], v1, v23, s[0:1]
	global_load_dword v23, v[0:1], off
	v_mov_b32_e32 v24, s2
	v_add_co_u32_e64 v0, s[0:1], s3, v0
	v_addc_co_u32_e64 v1, s[0:1], v1, v24, s[0:1]
	global_load_dword v24, v[0:1], off
	global_load_dword v25, v33, s[6:7] offset:3120
	global_load_dword v26, v33, s[6:7] offset:3360
	v_add_co_u32_e64 v0, s[0:1], s3, v0
	v_addc_co_u32_e64 v1, s[0:1], v1, v27, s[0:1]
	global_load_dword v27, v[0:1], off
	v_add_co_u32_e64 v0, s[0:1], s3, v0
	v_addc_co_u32_e64 v1, s[0:1], v1, v28, s[0:1]
	global_load_dword v28, v[0:1], off
	global_load_dword v29, v33, s[6:7] offset:3600
	v_pack_b32_f16 v0, v2, v5
	ds_write2_b32 v33, v6, v0 offset0:120 offset1:180
	s_waitcnt vmcnt(19)
	v_lshrrev_b32_e32 v0, 16, v21
	v_mul_f16_sdwa v1, v12, v0 dst_sel:DWORD dst_unused:UNUSED_PAD src0_sel:WORD_1 src1_sel:DWORD
	v_mul_f16_sdwa v2, v12, v21 dst_sel:DWORD dst_unused:UNUSED_PAD src0_sel:WORD_1 src1_sel:DWORD
	v_fma_f16 v1, v12, v21, v1
	v_fma_f16 v0, v12, v0, -v2
	v_pack_b32_f16 v0, v1, v0
	s_waitcnt vmcnt(18)
	v_lshrrev_b32_e32 v1, 16, v17
	v_mul_f16_sdwa v2, v13, v1 dst_sel:DWORD dst_unused:UNUSED_PAD src0_sel:WORD_1 src1_sel:DWORD
	v_mul_f16_sdwa v5, v13, v17 dst_sel:DWORD dst_unused:UNUSED_PAD src0_sel:WORD_1 src1_sel:DWORD
	v_fma_f16 v2, v13, v17, v2
	v_fma_f16 v1, v13, v1, -v5
	v_pack_b32_f16 v1, v2, v1
	v_add_u32_e32 v2, 0x200, v33
	ds_write2_b32 v2, v0, v1 offset0:112 offset1:172
	s_waitcnt vmcnt(17)
	v_lshrrev_b32_e32 v0, 16, v18
	v_mul_f16_sdwa v1, v14, v0 dst_sel:DWORD dst_unused:UNUSED_PAD src0_sel:WORD_1 src1_sel:DWORD
	v_mul_f16_sdwa v2, v14, v18 dst_sel:DWORD dst_unused:UNUSED_PAD src0_sel:WORD_1 src1_sel:DWORD
	v_fma_f16 v1, v14, v18, v1
	v_fma_f16 v0, v14, v0, -v2
	v_pack_b32_f16 v0, v1, v0
	s_waitcnt vmcnt(16)
	v_lshrrev_b32_e32 v1, 16, v19
	v_mul_f16_sdwa v2, v15, v1 dst_sel:DWORD dst_unused:UNUSED_PAD src0_sel:WORD_1 src1_sel:DWORD
	v_mul_f16_sdwa v5, v15, v19 dst_sel:DWORD dst_unused:UNUSED_PAD src0_sel:WORD_1 src1_sel:DWORD
	v_fma_f16 v2, v15, v19, v2
	v_fma_f16 v1, v15, v1, -v5
	v_pack_b32_f16 v1, v2, v1
	v_add_u32_e32 v2, 0x400, v33
	ds_write2_b32 v2, v0, v1 offset0:104 offset1:164
	s_waitcnt vmcnt(15)
	v_lshrrev_b32_e32 v0, 16, v22
	s_waitcnt vmcnt(14)
	v_mul_f16_sdwa v2, v3, v22 dst_sel:DWORD dst_unused:UNUSED_PAD src0_sel:WORD_1 src1_sel:DWORD
	v_mul_f16_sdwa v1, v3, v0 dst_sel:DWORD dst_unused:UNUSED_PAD src0_sel:WORD_1 src1_sel:DWORD
	v_fma_f16 v0, v3, v0, -v2
	s_waitcnt vmcnt(13)
	v_lshrrev_b32_e32 v2, 16, v4
	v_fma_f16 v1, v3, v22, v1
	s_waitcnt vmcnt(12)
	v_mul_f16_sdwa v3, v8, v2 dst_sel:DWORD dst_unused:UNUSED_PAD src0_sel:WORD_1 src1_sel:DWORD
	v_fma_f16 v3, v8, v4, v3
	v_mul_f16_sdwa v4, v8, v4 dst_sel:DWORD dst_unused:UNUSED_PAD src0_sel:WORD_1 src1_sel:DWORD
	v_fma_f16 v2, v8, v2, -v4
	v_pack_b32_f16 v0, v1, v0
	v_pack_b32_f16 v1, v3, v2
	v_add_u32_e32 v2, 0x600, v33
	ds_write2_b32 v2, v0, v1 offset0:96 offset1:156
	s_waitcnt vmcnt(11)
	v_lshrrev_b32_e32 v0, 16, v9
	s_waitcnt vmcnt(10)
	v_mul_f16_sdwa v1, v7, v0 dst_sel:DWORD dst_unused:UNUSED_PAD src0_sel:WORD_1 src1_sel:DWORD
	v_mul_f16_sdwa v2, v7, v9 dst_sel:DWORD dst_unused:UNUSED_PAD src0_sel:WORD_1 src1_sel:DWORD
	v_fma_f16 v1, v7, v9, v1
	v_fma_f16 v0, v7, v0, -v2
	v_pack_b32_f16 v0, v1, v0
	s_waitcnt vmcnt(9)
	v_lshrrev_b32_e32 v1, 16, v10
	s_waitcnt vmcnt(8)
	v_mul_f16_sdwa v2, v11, v1 dst_sel:DWORD dst_unused:UNUSED_PAD src0_sel:WORD_1 src1_sel:DWORD
	v_mul_f16_sdwa v3, v11, v10 dst_sel:DWORD dst_unused:UNUSED_PAD src0_sel:WORD_1 src1_sel:DWORD
	v_fma_f16 v2, v11, v10, v2
	v_fma_f16 v1, v11, v1, -v3
	v_pack_b32_f16 v1, v2, v1
	v_add_u32_e32 v2, 0x800, v33
	ds_write2_b32 v2, v0, v1 offset0:88 offset1:148
	s_waitcnt vmcnt(6)
	v_lshrrev_b32_e32 v0, 16, v23
	v_mul_f16_sdwa v1, v20, v0 dst_sel:DWORD dst_unused:UNUSED_PAD src0_sel:WORD_1 src1_sel:DWORD
	v_mul_f16_sdwa v2, v20, v23 dst_sel:DWORD dst_unused:UNUSED_PAD src0_sel:WORD_1 src1_sel:DWORD
	v_fma_f16 v1, v20, v23, v1
	v_fma_f16 v0, v20, v0, -v2
	v_pack_b32_f16 v0, v1, v0
	s_waitcnt vmcnt(5)
	v_lshrrev_b32_e32 v1, 16, v24
	s_waitcnt vmcnt(4)
	v_mul_f16_sdwa v2, v25, v1 dst_sel:DWORD dst_unused:UNUSED_PAD src0_sel:WORD_1 src1_sel:DWORD
	v_mul_f16_sdwa v3, v25, v24 dst_sel:DWORD dst_unused:UNUSED_PAD src0_sel:WORD_1 src1_sel:DWORD
	v_fma_f16 v2, v25, v24, v2
	v_fma_f16 v1, v25, v1, -v3
	v_pack_b32_f16 v1, v2, v1
	v_add_u32_e32 v2, 0xa00, v33
	ds_write2_b32 v2, v0, v1 offset0:80 offset1:140
	s_waitcnt vmcnt(2)
	v_lshrrev_b32_e32 v0, 16, v27
	v_mul_f16_sdwa v1, v26, v0 dst_sel:DWORD dst_unused:UNUSED_PAD src0_sel:WORD_1 src1_sel:DWORD
	v_mul_f16_sdwa v2, v26, v27 dst_sel:DWORD dst_unused:UNUSED_PAD src0_sel:WORD_1 src1_sel:DWORD
	v_fma_f16 v1, v26, v27, v1
	v_fma_f16 v0, v26, v0, -v2
	v_pack_b32_f16 v0, v1, v0
	s_waitcnt vmcnt(1)
	v_lshrrev_b32_e32 v1, 16, v28
	s_waitcnt vmcnt(0)
	v_mul_f16_sdwa v2, v29, v1 dst_sel:DWORD dst_unused:UNUSED_PAD src0_sel:WORD_1 src1_sel:DWORD
	v_mul_f16_sdwa v3, v29, v28 dst_sel:DWORD dst_unused:UNUSED_PAD src0_sel:WORD_1 src1_sel:DWORD
	v_fma_f16 v2, v29, v28, v2
	v_fma_f16 v1, v29, v1, -v3
	v_pack_b32_f16 v1, v2, v1
	v_add_u32_e32 v2, 0xc00, v33
	ds_write2_b32 v2, v0, v1 offset0:72 offset1:132
.LBB0_3:
	s_or_b64 exec, exec, s[8:9]
	s_waitcnt lgkmcnt(0)
	s_barrier
	s_waitcnt lgkmcnt(0)
                                        ; implicit-def: $vgpr0
                                        ; implicit-def: $vgpr8
                                        ; implicit-def: $vgpr4
                                        ; implicit-def: $vgpr12
                                        ; implicit-def: $vgpr2
                                        ; implicit-def: $vgpr10
                                        ; implicit-def: $vgpr6
                                        ; implicit-def: $vgpr14
	s_and_saveexec_b64 s[0:1], vcc
	s_cbranch_execz .LBB0_5
; %bb.4:
	v_add_u32_e32 v4, 0x200, v33
	v_add_u32_e32 v6, 0x400, v33
	;; [unrolled: 1-line block ×6, first 2 shown]
	ds_read2_b32 v[0:1], v33 offset1:60
	ds_read2_b32 v[2:3], v33 offset0:120 offset1:180
	ds_read2_b32 v[4:5], v4 offset0:112 offset1:172
	;; [unrolled: 1-line block ×7, first 2 shown]
.LBB0_5:
	s_or_b64 exec, exec, s[0:1]
	s_waitcnt lgkmcnt(3)
	v_pk_add_f16 v8, v0, v8 neg_lo:[0,1] neg_hi:[0,1]
	s_waitcnt lgkmcnt(1)
	v_pk_add_f16 v12, v4, v12 neg_lo:[0,1] neg_hi:[0,1]
	v_lshrrev_b32_e32 v17, 16, v8
	v_pk_add_f16 v10, v2, v10 neg_lo:[0,1] neg_hi:[0,1]
	s_waitcnt lgkmcnt(0)
	v_pk_add_f16 v14, v6, v14 neg_lo:[0,1] neg_hi:[0,1]
	v_add_f16_e32 v19, v12, v17
	v_fma_f16 v21, v17, 2.0, -v19
	v_lshrrev_b32_e32 v17, 16, v10
	v_sub_f16_sdwa v20, v8, v12 dst_sel:DWORD dst_unused:UNUSED_PAD src0_sel:DWORD src1_sel:WORD_1
	v_sub_f16_sdwa v23, v10, v14 dst_sel:DWORD dst_unused:UNUSED_PAD src0_sel:DWORD src1_sel:WORD_1
	v_add_f16_e32 v18, v14, v17
	s_mov_b32 s0, 0xb9a8
	v_fma_f16 v22, v8, 2.0, -v20
	v_fma_f16 v24, v10, 2.0, -v23
	v_pk_add_f16 v9, v1, v9 neg_lo:[0,1] neg_hi:[0,1]
	v_fma_f16 v17, v17, 2.0, -v18
	v_fma_f16 v25, v24, s0, v22
	v_pk_add_f16 v13, v5, v13 neg_lo:[0,1] neg_hi:[0,1]
	v_pk_add_f16 v11, v3, v11 neg_lo:[0,1] neg_hi:[0,1]
	;; [unrolled: 1-line block ×3, first 2 shown]
	v_fma_f16 v27, v17, s0, v25
	v_fma_f16 v17, v17, s0, v21
	s_movk_i32 s1, 0x39a8
	v_pk_fma_f16 v2, v2, 2.0, v10 op_sel_hi:[1,0,1] neg_lo:[0,0,1] neg_hi:[0,0,1]
	v_lshrrev_b32_e32 v10, 16, v9
	v_fma_f16 v29, v24, s1, v17
	v_fma_f16 v17, v23, s1, v20
	v_pk_fma_f16 v0, v0, 2.0, v8 op_sel_hi:[1,0,1] neg_lo:[0,0,1] neg_hi:[0,0,1]
	v_pk_fma_f16 v4, v4, 2.0, v12 op_sel_hi:[1,0,1] neg_lo:[0,0,1] neg_hi:[0,0,1]
	;; [unrolled: 1-line block ×4, first 2 shown]
	v_sub_f16_sdwa v8, v9, v13 dst_sel:DWORD dst_unused:UNUSED_PAD src0_sel:DWORD src1_sel:WORD_1
	v_add_f16_e32 v12, v13, v10
	v_sub_f16_sdwa v13, v11, v15 dst_sel:DWORD dst_unused:UNUSED_PAD src0_sel:DWORD src1_sel:WORD_1
	v_lshrrev_b32_e32 v14, 16, v11
	v_fma_f16 v26, v18, s0, v17
	v_fma_f16 v17, v18, s1, v19
	v_pk_fma_f16 v1, v1, 2.0, v9 op_sel_hi:[1,0,1] neg_lo:[0,0,1] neg_hi:[0,0,1]
	v_pk_fma_f16 v3, v3, 2.0, v11 op_sel_hi:[1,0,1] neg_lo:[0,0,1] neg_hi:[0,0,1]
	;; [unrolled: 1-line block ×3, first 2 shown]
	v_fma_f16 v9, v9, 2.0, -v8
	v_add_f16_e32 v15, v15, v14
	v_fma_f16 v11, v11, 2.0, -v13
	v_fma_f16 v30, v23, s1, v17
	v_fma_f16 v10, v10, 2.0, -v12
	v_fma_f16 v14, v14, 2.0, -v15
	v_fma_f16 v17, v11, s0, v9
	v_pk_add_f16 v4, v0, v4 neg_lo:[0,1] neg_hi:[0,1]
	v_fma_f16 v31, v14, s0, v17
	v_fma_f16 v14, v14, s0, v10
	v_pk_add_f16 v6, v2, v6 neg_lo:[0,1] neg_hi:[0,1]
	v_lshrrev_b32_e32 v17, 16, v4
	v_fma_f16 v11, v11, s1, v14
	v_fma_f16 v14, v13, s1, v8
	v_pk_fma_f16 v2, v2, 2.0, v6 op_sel_hi:[1,0,1] neg_lo:[0,0,1] neg_hi:[0,0,1]
	v_pk_add_f16 v5, v1, v5 neg_lo:[0,1] neg_hi:[0,1]
	v_sub_f16_sdwa v25, v4, v6 dst_sel:DWORD dst_unused:UNUSED_PAD src0_sel:DWORD src1_sel:WORD_1
	v_add_f16_e32 v6, v6, v17
	v_fma_f16 v14, v15, s0, v14
	v_fma_f16 v15, v15, s1, v12
	v_pk_add_f16 v7, v3, v7 neg_lo:[0,1] neg_hi:[0,1]
	v_fma_f16 v32, v17, 2.0, -v6
	v_lshrrev_b32_e32 v17, 16, v5
	v_fma_f16 v13, v13, s1, v15
	v_fma_f16 v15, v20, 2.0, -v26
	v_pk_fma_f16 v3, v3, 2.0, v7 op_sel_hi:[1,0,1] neg_lo:[0,0,1] neg_hi:[0,0,1]
	v_sub_f16_sdwa v20, v5, v7 dst_sel:DWORD dst_unused:UNUSED_PAD src0_sel:DWORD src1_sel:WORD_1
	v_add_f16_e32 v7, v7, v17
	v_fma_f16 v17, v17, 2.0, -v7
	v_pk_fma_f16 v0, v0, 2.0, v4 op_sel_hi:[1,0,1] neg_lo:[0,0,1] neg_hi:[0,0,1]
	v_pk_fma_f16 v1, v1, 2.0, v5 op_sel_hi:[1,0,1] neg_lo:[0,0,1] neg_hi:[0,0,1]
	v_fma_f16 v4, v4, 2.0, -v25
	v_fma_f16 v5, v5, 2.0, -v20
	v_fma_f16 v18, v17, s0, v32
	v_fma_f16 v38, v5, s1, v18
	v_fma_f16 v5, v5, s0, v4
	v_fma_f16 v8, v8, 2.0, -v14
	s_mov_b32 s9, 0xb61f
	v_fma_f16 v17, v17, s0, v5
	v_fma_f16 v12, v12, 2.0, -v13
	s_mov_b32 s8, 0xbb64
	v_fma_f16 v5, v8, s9, v15
	v_fma_f16 v23, v4, 2.0, -v17
	v_fma_f16 v4, v7, s1, v6
	v_fma_f16 v18, v12, s8, v5
	v_fma_f16 v5, v19, 2.0, -v30
	s_movk_i32 s10, 0x3b64
	v_fma_f16 v40, v20, s1, v4
	v_fma_f16 v4, v20, s1, v25
	v_fma_f16 v12, v12, s9, v5
	v_fma_f16 v19, v7, s0, v4
	v_fma_f16 v4, v14, s10, v26
	v_fma_f16 v37, v8, s10, v12
	v_fma_f16 v20, v13, s9, v4
	s_movk_i32 s0, 0x361f
	v_fma_f16 v4, v13, s10, v30
	s_load_dwordx2 s[2:3], s[4:5], 0x8
	v_fma_f16 v7, v21, 2.0, -v29
	v_fma_f16 v8, v9, 2.0, -v31
	;; [unrolled: 1-line block ×3, first 2 shown]
	v_pk_add_f16 v2, v0, v2 neg_lo:[0,1] neg_hi:[0,1]
	v_pk_add_f16 v3, v1, v3 neg_lo:[0,1] neg_hi:[0,1]
	v_fma_f16 v39, v14, s0, v4
	v_fma_f16 v4, v22, 2.0, -v27
	v_fma_f16 v10, v9, s8, v7
	v_fma_f16 v45, v5, 2.0, -v37
	v_fma_f16 v5, v11, s0, v29
	v_sub_f16_sdwa v21, v2, v3 dst_sel:DWORD dst_unused:UNUSED_PAD src0_sel:DWORD src1_sel:WORD_1
	v_pk_fma_f16 v0, v0, 2.0, v2 op_sel_hi:[1,0,1] neg_lo:[0,0,1] neg_hi:[0,0,1]
	v_pk_fma_f16 v1, v1, 2.0, v3 op_sel_hi:[1,0,1] neg_lo:[0,0,1] neg_hi:[0,0,1]
	v_fma_f16 v46, v8, s0, v10
	v_fma_f16 v8, v8, s8, v4
	;; [unrolled: 1-line block ×4, first 2 shown]
	v_fma_f16 v31, v2, 2.0, -v21
	v_lshrrev_b32_e32 v2, 16, v2
	v_fma_f16 v28, v9, s9, v8
	v_fma_f16 v22, v11, s8, v5
	v_add_f16_e32 v42, v3, v2
	v_pk_add_f16 v12, v0, v1 neg_lo:[0,1] neg_hi:[0,1]
	v_fma_f16 v24, v15, 2.0, -v18
	v_fma_f16 v25, v25, 2.0, -v19
	;; [unrolled: 1-line block ×11, first 2 shown]
	v_lshlrev_b16_e32 v36, 4, v34
	v_pk_fma_f16 v8, v0, 2.0, v12 op_sel_hi:[1,0,1] neg_lo:[0,0,1] neg_hi:[0,0,1]
	s_waitcnt lgkmcnt(0)
	s_barrier
	s_and_saveexec_b64 s[0:1], vcc
	s_cbranch_execz .LBB0_7
; %bb.6:
	s_mov_b32 s8, 0x5040100
	v_perm_b32 v3, v50, v26, s8
	v_perm_b32 v2, v49, v25, s8
	;; [unrolled: 1-line block ×4, first 2 shown]
	v_lshlrev_b32_e32 v4, 2, v36
	ds_write_b128 v4, v[0:3] offset:16
	v_perm_b32 v3, v39, v20, s8
	v_perm_b32 v2, v40, v19, s8
	;; [unrolled: 1-line block ×10, first 2 shown]
	ds_write_b128 v4, v[0:3] offset:48
	ds_write_b128 v4, v[8:11]
	ds_write_b128 v4, v[12:15] offset:32
.LBB0_7:
	s_or_b64 exec, exec, s[0:1]
	s_load_dwordx2 s[4:5], s[4:5], 0x20
	s_movk_i32 s0, 0x60
	v_cmp_gt_u16_e64 s[0:1], s0, v34
	s_waitcnt lgkmcnt(0)
	s_barrier
	s_and_saveexec_b64 s[8:9], s[0:1]
	s_cbranch_execz .LBB0_9
; %bb.8:
	v_add_u32_e32 v0, 0x200, v33
	ds_read2_b32 v[23:24], v0 offset0:64 offset1:160
	v_add_u32_e32 v0, 0x400, v33
	ds_read2_b32 v[31:32], v0 offset0:128 offset1:224
	;; [unrolled: 2-line block ×3, first 2 shown]
	v_add_u32_e32 v0, 0xc00, v33
	ds_read2_b32 v[29:30], v33 offset1:96
	ds_read2_b32 v[27:28], v0 offset1:96
	s_waitcnt lgkmcnt(4)
	v_lshrrev_b32_e32 v44, 16, v23
	v_lshrrev_b32_e32 v45, 16, v24
	s_waitcnt lgkmcnt(3)
	v_lshrrev_b32_e32 v47, 16, v31
	s_waitcnt lgkmcnt(1)
	v_lshrrev_b32_e32 v43, 16, v30
	v_lshrrev_b32_e32 v48, 16, v32
	;; [unrolled: 1-line block ×4, first 2 shown]
	s_waitcnt lgkmcnt(0)
	v_lshrrev_b32_e32 v46, 16, v28
	v_mov_b32_e32 v12, v27
	v_mov_b32_e32 v8, v29
.LBB0_9:
	s_or_b64 exec, exec, s[8:9]
	v_and_b32_e32 v29, 15, v34
	v_mad_u64_u32 v[9:10], s[8:9], v29, 36, s[2:3]
	v_lshrrev_b32_e32 v13, 16, v12
	s_movk_i32 s10, 0x3b9c
	global_load_dwordx4 v[0:3], v[9:10], off offset:16
	global_load_dwordx4 v[4:7], v[9:10], off
	global_load_dword v35, v[9:10], off offset:32
	s_mov_b32 s11, 0xbb9c
	s_movk_i32 s8, 0x38b4
	s_mov_b32 s9, 0xb8b4
	v_lshrrev_b32_e32 v9, 16, v8
	s_movk_i32 s14, 0x34f2
	s_movk_i32 s15, 0x3a79
	s_waitcnt vmcnt(0)
	s_barrier
	v_mul_f16_sdwa v10, v13, v3 dst_sel:DWORD dst_unused:UNUSED_PAD src0_sel:DWORD src1_sel:WORD_1
	v_mul_f16_sdwa v14, v12, v3 dst_sel:DWORD dst_unused:UNUSED_PAD src0_sel:DWORD src1_sel:WORD_1
	;; [unrolled: 1-line block ×15, first 2 shown]
	v_fma_f16 v11, v12, v3, -v10
	v_fma_f16 v27, v23, v5, -v27
	;; [unrolled: 1-line block ×5, first 2 shown]
	v_fma_f16 v54, v44, v5, v53
	v_fma_f16 v53, v45, v6, v55
	;; [unrolled: 1-line block ×7, first 2 shown]
	v_mul_f16_sdwa v52, v30, v4 dst_sel:DWORD dst_unused:UNUSED_PAD src0_sel:DWORD src1_sel:WORD_1
	v_mul_f16_sdwa v63, v46, v35 dst_sel:DWORD dst_unused:UNUSED_PAD src0_sel:DWORD src1_sel:WORD_1
	;; [unrolled: 1-line block ×3, first 2 shown]
	v_fma_f16 v10, v30, v4, -v15
	v_fma_f16 v24, v32, v0, -v56
	v_sub_f16_e32 v12, v27, v31
	v_sub_f16_e32 v13, v11, v51
	;; [unrolled: 1-line block ×6, first 2 shown]
	v_add_f16_e32 v45, v31, v51
	v_fma_f16 v25, v26, v2, -v60
	v_fma_f16 v26, v28, v35, -v63
	v_fma_f16 v28, v46, v35, v64
	v_add_f16_e32 v46, v27, v11
	v_sub_f16_e32 v56, v54, v50
	v_add_f16_e32 v12, v12, v13
	v_add_f16_e32 v13, v14, v15
	;; [unrolled: 1-line block ×3, first 2 shown]
	v_fma_f16 v30, v45, -0.5, v8
	v_fma_f16 v52, v43, v4, v52
	v_sub_f16_e32 v43, v55, v54
	v_sub_f16_e32 v44, v49, v50
	;; [unrolled: 1-line block ×3, first 2 shown]
	v_add_f16_e32 v58, v55, v49
	v_add_f16_e32 v59, v54, v50
	v_fma_f16 v32, v46, -0.5, v8
	v_fma_f16 v45, v56, s10, v30
	v_fma_f16 v30, v56, s11, v30
	v_sub_f16_e32 v61, v27, v11
	v_sub_f16_e32 v62, v31, v51
	v_add_f16_e32 v15, v43, v44
	v_fma_f16 v43, v58, -0.5, v9
	v_fma_f16 v44, v59, -0.5, v9
	v_fma_f16 v46, v57, s11, v32
	v_fma_f16 v32, v57, s10, v32
	;; [unrolled: 1-line block ×20, first 2 shown]
	v_sub_f16_e32 v12, v23, v24
	v_sub_f16_e32 v13, v26, v25
	v_add_f16_e32 v12, v12, v13
	v_add_f16_e32 v13, v24, v25
	v_fma_f16 v59, v14, s14, v60
	v_fma_f16 v60, v14, s14, v43
	v_fma_f16 v13, v13, -0.5, v10
	v_sub_f16_e32 v14, v53, v28
	v_fma_f16 v15, v14, s10, v13
	v_sub_f16_e32 v30, v47, v48
	v_fma_f16 v13, v14, s11, v13
	v_fma_f16 v15, v30, s8, v15
	;; [unrolled: 1-line block ×5, first 2 shown]
	v_sub_f16_e32 v13, v24, v23
	v_sub_f16_e32 v32, v25, v26
	v_add_f16_e32 v13, v13, v32
	v_add_f16_e32 v32, v23, v26
	v_fma_f16 v32, v32, -0.5, v10
	v_fma_f16 v43, v30, s11, v32
	v_fma_f16 v30, v30, s10, v32
	v_fma_f16 v32, v14, s8, v43
	v_fma_f16 v14, v14, s9, v30
	v_fma_f16 v30, v13, s14, v32
	v_fma_f16 v13, v13, s14, v14
	v_sub_f16_e32 v14, v53, v47
	v_sub_f16_e32 v32, v28, v48
	v_add_f16_e32 v14, v14, v32
	v_add_f16_e32 v32, v47, v48
	v_fma_f16 v32, v32, -0.5, v52
	v_sub_f16_e32 v43, v23, v26
	v_fma_f16 v44, v43, s11, v32
	v_sub_f16_e32 v45, v24, v25
	v_fma_f16 v32, v43, s10, v32
	v_fma_f16 v44, v45, s9, v44
	;; [unrolled: 1-line block ×5, first 2 shown]
	v_sub_f16_e32 v32, v47, v53
	v_sub_f16_e32 v63, v48, v28
	v_add_f16_e32 v32, v32, v63
	v_add_f16_e32 v63, v53, v28
	v_fma_f16 v63, v63, -0.5, v52
	v_fma_f16 v64, v45, s10, v63
	v_fma_f16 v45, v45, s11, v63
	;; [unrolled: 1-line block ×6, first 2 shown]
	v_mul_f16_e32 v43, 0x38b4, v44
	v_fma_f16 v63, v15, s15, v43
	v_mul_f16_e32 v15, 0xb8b4, v15
	v_fma_f16 v65, v44, s15, v15
	;; [unrolled: 2-line block ×4, first 2 shown]
	v_mul_f16_e32 v15, 0x34f2, v13
	v_fma_f16 v66, v32, s10, -v15
	v_mul_f16_e32 v15, 0x34f2, v32
	v_fma_f16 v69, v13, s11, -v15
	;; [unrolled: 2-line block ×4, first 2 shown]
	v_sub_f16_e32 v12, v46, v63
	v_sub_f16_e32 v13, v56, v64
	;; [unrolled: 1-line block ×8, first 2 shown]
	v_lshrrev_b32_e32 v30, 4, v34
	s_and_saveexec_b64 s[8:9], s[0:1]
	s_cbranch_execz .LBB0_11
; %bb.10:
	v_add_f16_e32 v9, v9, v54
	v_add_f16_e32 v9, v9, v55
	;; [unrolled: 1-line block ×16, first 2 shown]
	v_sub_f16_e32 v11, v8, v10
	v_add_f16_e32 v8, v8, v10
	v_mul_u32_u24_e32 v10, 0xa0, v30
	v_sub_f16_e32 v47, v9, v28
	v_add_f16_e32 v26, v59, v65
	v_add_f16_e32 v9, v9, v28
	;; [unrolled: 1-line block ×3, first 2 shown]
	v_or_b32_e32 v10, v10, v29
	v_add_f16_e32 v24, v62, v69
	v_add_f16_e32 v25, v61, v67
	v_add_f16_e32 v28, v58, v66
	v_add_f16_e32 v31, v56, v64
	v_lshlrev_b32_e32 v10, 2, v10
	v_pack_b32_f16 v8, v8, v9
	v_pack_b32_f16 v9, v46, v26
	v_add_f16_e32 v23, v60, v70
	v_add_f16_e32 v27, v57, v68
	ds_write2_b32 v10, v8, v9 offset1:16
	v_pack_b32_f16 v8, v31, v25
	v_pack_b32_f16 v9, v28, v24
	ds_write2_b32 v10, v8, v9 offset0:32 offset1:48
	v_pack_b32_f16 v8, v27, v23
	v_pack_b32_f16 v9, v11, v47
	s_mov_b32 s10, 0x5040100
	ds_write2_b32 v10, v8, v9 offset0:64 offset1:80
	v_perm_b32 v8, v43, v12, s10
	v_perm_b32 v9, v32, v13, s10
	ds_write2_b32 v10, v8, v9 offset0:96 offset1:112
	v_perm_b32 v8, v45, v14, s10
	v_perm_b32 v9, v44, v15, s10
	ds_write2_b32 v10, v8, v9 offset0:128 offset1:144
.LBB0_11:
	s_or_b64 exec, exec, s[8:9]
	v_mad_u64_u32 v[23:24], s[2:3], v34, 20, s[2:3]
	s_load_dwordx4 s[8:11], s[4:5], 0x0
	s_waitcnt lgkmcnt(0)
	s_barrier
	global_load_dwordx4 v[8:11], v[23:24], off offset:576
	global_load_dword v31, v[23:24], off offset:592
	v_add_u32_e32 v53, 0x400, v33
	v_add_u32_e32 v52, 0xa00, v33
	ds_read2_b32 v[25:26], v53 offset0:64 offset1:224
	ds_read2_b32 v[27:28], v52 offset1:160
	ds_read2_b32 v[23:24], v33 offset1:160
	s_movk_i32 s2, 0x3aee
	s_mov_b32 s3, 0xbaee
	s_waitcnt lgkmcnt(2)
	v_lshrrev_b32_e32 v48, 16, v25
	v_lshrrev_b32_e32 v49, 16, v26
	s_waitcnt lgkmcnt(1)
	v_lshrrev_b32_e32 v50, 16, v27
	v_lshrrev_b32_e32 v51, 16, v28
	;; [unrolled: 3-line block ×3, first 2 shown]
	s_waitcnt vmcnt(1)
	v_mul_f16_sdwa v55, v24, v8 dst_sel:DWORD dst_unused:UNUSED_PAD src0_sel:DWORD src1_sel:WORD_1
	v_mul_f16_sdwa v56, v48, v9 dst_sel:DWORD dst_unused:UNUSED_PAD src0_sel:DWORD src1_sel:WORD_1
	;; [unrolled: 1-line block ×7, first 2 shown]
	s_waitcnt vmcnt(0)
	v_mul_f16_sdwa v62, v51, v31 dst_sel:DWORD dst_unused:UNUSED_PAD src0_sel:DWORD src1_sel:WORD_1
	v_mul_f16_sdwa v63, v28, v31 dst_sel:DWORD dst_unused:UNUSED_PAD src0_sel:DWORD src1_sel:WORD_1
	v_mul_f16_sdwa v54, v47, v8 dst_sel:DWORD dst_unused:UNUSED_PAD src0_sel:DWORD src1_sel:WORD_1
	v_fma_f16 v47, v47, v8, v55
	v_fma_f16 v25, v25, v9, -v56
	v_fma_f16 v48, v48, v9, v57
	v_fma_f16 v26, v26, v10, -v58
	;; [unrolled: 2-line block ×5, first 2 shown]
	v_add_f16_e32 v55, v25, v27
	v_sub_f16_e32 v56, v48, v50
	v_add_f16_e32 v57, v46, v48
	v_add_f16_e32 v48, v48, v50
	;; [unrolled: 1-line block ×3, first 2 shown]
	v_sub_f16_e32 v60, v49, v51
	v_add_f16_e32 v61, v47, v49
	v_add_f16_e32 v49, v49, v51
	;; [unrolled: 1-line block ×3, first 2 shown]
	v_sub_f16_e32 v25, v25, v27
	v_add_f16_e32 v58, v24, v26
	v_sub_f16_e32 v26, v26, v28
	v_fma_f16 v23, v55, -0.5, v23
	v_fma_f16 v46, v48, -0.5, v46
	;; [unrolled: 1-line block ×4, first 2 shown]
	v_add_f16_e32 v27, v54, v27
	v_add_f16_e32 v50, v57, v50
	;; [unrolled: 1-line block ×4, first 2 shown]
	v_fma_f16 v51, v56, s2, v23
	v_fma_f16 v54, v56, s3, v23
	;; [unrolled: 1-line block ×8, first 2 shown]
	v_add_f16_e32 v23, v27, v28
	v_add_f16_e32 v47, v50, v48
	v_sub_f16_e32 v26, v27, v28
	v_sub_f16_e32 v46, v50, v48
	v_mul_f16_e32 v27, 0x3aee, v49
	v_mul_f16_e32 v28, -0.5, v24
	v_mul_f16_e32 v48, 0xbaee, v25
	v_mul_f16_e32 v50, -0.5, v57
	v_fma_f16 v27, v25, 0.5, v27
	v_fma_f16 v28, v57, s2, v28
	v_fma_f16 v57, v49, 0.5, v48
	v_fma_f16 v50, v24, s3, v50
	v_add_f16_e32 v24, v51, v27
	v_add_f16_e32 v25, v54, v28
	;; [unrolled: 1-line block ×4, first 2 shown]
	v_pack_b32_f16 v58, v23, v47
	v_sub_f16_e32 v27, v51, v27
	v_sub_f16_e32 v28, v54, v28
	;; [unrolled: 1-line block ×4, first 2 shown]
	v_pack_b32_f16 v54, v24, v48
	v_pack_b32_f16 v55, v25, v49
	;; [unrolled: 1-line block ×3, first 2 shown]
	ds_write2_b32 v33, v58, v54 offset1:160
	ds_write2_b32 v53, v55, v59 offset0:64 offset1:224
	v_pack_b32_f16 v54, v27, v51
	v_pack_b32_f16 v55, v28, v50
	ds_write2_b32 v52, v54, v55 offset1:160
	s_waitcnt lgkmcnt(0)
	s_barrier
	s_and_saveexec_b64 s[2:3], vcc
	s_cbranch_execz .LBB0_13
; %bb.12:
	global_load_dword v57, v33, s[6:7] offset:3840
	ds_read2_b32 v[54:55], v33 offset1:60
	s_add_u32 s4, s6, 0xf00
	s_addc_u32 s5, s7, 0
	s_waitcnt lgkmcnt(0)
	v_lshrrev_b32_e32 v56, 16, v54
	s_waitcnt vmcnt(0)
	v_mul_f16_sdwa v58, v56, v57 dst_sel:DWORD dst_unused:UNUSED_PAD src0_sel:DWORD src1_sel:WORD_1
	v_fma_f16 v58, v54, v57, -v58
	v_mul_f16_sdwa v54, v54, v57 dst_sel:DWORD dst_unused:UNUSED_PAD src0_sel:DWORD src1_sel:WORD_1
	v_fma_f16 v54, v56, v57, v54
	global_load_dword v57, v33, s[4:5] offset:240
	v_lshrrev_b32_e32 v56, 16, v55
	v_pack_b32_f16 v54, v58, v54
	s_waitcnt vmcnt(0)
	v_mul_f16_sdwa v58, v56, v57 dst_sel:DWORD dst_unused:UNUSED_PAD src0_sel:DWORD src1_sel:WORD_1
	v_fma_f16 v58, v55, v57, -v58
	v_mul_f16_sdwa v55, v55, v57 dst_sel:DWORD dst_unused:UNUSED_PAD src0_sel:DWORD src1_sel:WORD_1
	v_fma_f16 v55, v56, v57, v55
	global_load_dword v57, v33, s[4:5] offset:480
	v_pack_b32_f16 v55, v58, v55
	ds_write2_b32 v33, v54, v55 offset1:60
	ds_read2_b32 v[54:55], v33 offset0:120 offset1:180
	s_waitcnt lgkmcnt(0)
	v_lshrrev_b32_e32 v56, 16, v54
	s_waitcnt vmcnt(0)
	v_mul_f16_sdwa v58, v56, v57 dst_sel:DWORD dst_unused:UNUSED_PAD src0_sel:DWORD src1_sel:WORD_1
	v_fma_f16 v58, v54, v57, -v58
	v_mul_f16_sdwa v54, v54, v57 dst_sel:DWORD dst_unused:UNUSED_PAD src0_sel:DWORD src1_sel:WORD_1
	v_fma_f16 v54, v56, v57, v54
	global_load_dword v57, v33, s[4:5] offset:720
	v_lshrrev_b32_e32 v56, 16, v55
	v_pack_b32_f16 v54, v58, v54
	s_waitcnt vmcnt(0)
	v_mul_f16_sdwa v58, v56, v57 dst_sel:DWORD dst_unused:UNUSED_PAD src0_sel:DWORD src1_sel:WORD_1
	v_fma_f16 v58, v55, v57, -v58
	v_mul_f16_sdwa v55, v55, v57 dst_sel:DWORD dst_unused:UNUSED_PAD src0_sel:DWORD src1_sel:WORD_1
	v_fma_f16 v55, v56, v57, v55
	v_pack_b32_f16 v55, v58, v55
	global_load_dword v58, v33, s[4:5] offset:960
	v_add_u32_e32 v56, 0x200, v33
	ds_write2_b32 v33, v54, v55 offset0:120 offset1:180
	ds_read2_b32 v[54:55], v56 offset0:112 offset1:172
	s_waitcnt lgkmcnt(0)
	v_lshrrev_b32_e32 v57, 16, v54
	s_waitcnt vmcnt(0)
	v_mul_f16_sdwa v59, v57, v58 dst_sel:DWORD dst_unused:UNUSED_PAD src0_sel:DWORD src1_sel:WORD_1
	v_fma_f16 v59, v54, v58, -v59
	v_mul_f16_sdwa v54, v54, v58 dst_sel:DWORD dst_unused:UNUSED_PAD src0_sel:DWORD src1_sel:WORD_1
	v_fma_f16 v54, v57, v58, v54
	global_load_dword v58, v33, s[4:5] offset:1200
	v_lshrrev_b32_e32 v57, 16, v55
	v_pack_b32_f16 v54, v59, v54
	s_waitcnt vmcnt(0)
	v_mul_f16_sdwa v59, v57, v58 dst_sel:DWORD dst_unused:UNUSED_PAD src0_sel:DWORD src1_sel:WORD_1
	v_fma_f16 v59, v55, v58, -v59
	v_mul_f16_sdwa v55, v55, v58 dst_sel:DWORD dst_unused:UNUSED_PAD src0_sel:DWORD src1_sel:WORD_1
	v_fma_f16 v55, v57, v58, v55
	global_load_dword v57, v33, s[4:5] offset:1440
	v_pack_b32_f16 v55, v59, v55
	ds_write2_b32 v56, v54, v55 offset0:112 offset1:172
	ds_read2_b32 v[54:55], v53 offset0:104 offset1:164
	s_waitcnt lgkmcnt(0)
	v_lshrrev_b32_e32 v56, 16, v54
	s_waitcnt vmcnt(0)
	v_mul_f16_sdwa v58, v56, v57 dst_sel:DWORD dst_unused:UNUSED_PAD src0_sel:DWORD src1_sel:WORD_1
	v_fma_f16 v58, v54, v57, -v58
	v_mul_f16_sdwa v54, v54, v57 dst_sel:DWORD dst_unused:UNUSED_PAD src0_sel:DWORD src1_sel:WORD_1
	v_fma_f16 v54, v56, v57, v54
	global_load_dword v57, v33, s[4:5] offset:1680
	v_lshrrev_b32_e32 v56, 16, v55
	v_pack_b32_f16 v54, v58, v54
	s_waitcnt vmcnt(0)
	v_mul_f16_sdwa v58, v56, v57 dst_sel:DWORD dst_unused:UNUSED_PAD src0_sel:DWORD src1_sel:WORD_1
	v_fma_f16 v58, v55, v57, -v58
	v_mul_f16_sdwa v55, v55, v57 dst_sel:DWORD dst_unused:UNUSED_PAD src0_sel:DWORD src1_sel:WORD_1
	v_fma_f16 v55, v56, v57, v55
	global_load_dword v57, v33, s[4:5] offset:1920
	v_pack_b32_f16 v55, v58, v55
	ds_write2_b32 v53, v54, v55 offset0:104 offset1:164
	v_add_u32_e32 v55, 0x600, v33
	ds_read2_b32 v[53:54], v55 offset0:96 offset1:156
	s_waitcnt lgkmcnt(0)
	v_lshrrev_b32_e32 v56, 16, v53
	s_waitcnt vmcnt(0)
	v_mul_f16_sdwa v58, v56, v57 dst_sel:DWORD dst_unused:UNUSED_PAD src0_sel:DWORD src1_sel:WORD_1
	v_fma_f16 v58, v53, v57, -v58
	v_mul_f16_sdwa v53, v53, v57 dst_sel:DWORD dst_unused:UNUSED_PAD src0_sel:DWORD src1_sel:WORD_1
	v_fma_f16 v53, v56, v57, v53
	global_load_dword v57, v33, s[4:5] offset:2160
	v_lshrrev_b32_e32 v56, 16, v54
	v_pack_b32_f16 v53, v58, v53
	s_waitcnt vmcnt(0)
	v_mul_f16_sdwa v58, v56, v57 dst_sel:DWORD dst_unused:UNUSED_PAD src0_sel:DWORD src1_sel:WORD_1
	v_fma_f16 v58, v54, v57, -v58
	v_mul_f16_sdwa v54, v54, v57 dst_sel:DWORD dst_unused:UNUSED_PAD src0_sel:DWORD src1_sel:WORD_1
	v_fma_f16 v54, v56, v57, v54
	global_load_dword v57, v33, s[4:5] offset:2400
	v_pack_b32_f16 v54, v58, v54
	ds_write2_b32 v55, v53, v54 offset0:96 offset1:156
	v_add_u32_e32 v55, 0x800, v33
	ds_read2_b32 v[53:54], v55 offset0:88 offset1:148
	s_waitcnt lgkmcnt(0)
	v_lshrrev_b32_e32 v56, 16, v53
	s_waitcnt vmcnt(0)
	v_mul_f16_sdwa v58, v56, v57 dst_sel:DWORD dst_unused:UNUSED_PAD src0_sel:DWORD src1_sel:WORD_1
	v_fma_f16 v58, v53, v57, -v58
	v_mul_f16_sdwa v53, v53, v57 dst_sel:DWORD dst_unused:UNUSED_PAD src0_sel:DWORD src1_sel:WORD_1
	v_fma_f16 v53, v56, v57, v53
	global_load_dword v57, v33, s[4:5] offset:2640
	v_lshrrev_b32_e32 v56, 16, v54
	v_pack_b32_f16 v53, v58, v53
	s_waitcnt vmcnt(0)
	v_mul_f16_sdwa v58, v56, v57 dst_sel:DWORD dst_unused:UNUSED_PAD src0_sel:DWORD src1_sel:WORD_1
	v_fma_f16 v58, v54, v57, -v58
	v_mul_f16_sdwa v54, v54, v57 dst_sel:DWORD dst_unused:UNUSED_PAD src0_sel:DWORD src1_sel:WORD_1
	v_fma_f16 v54, v56, v57, v54
	global_load_dword v56, v33, s[4:5] offset:2880
	v_pack_b32_f16 v54, v58, v54
	ds_write2_b32 v55, v53, v54 offset0:88 offset1:148
	ds_read2_b32 v[53:54], v52 offset0:80 offset1:140
	s_waitcnt lgkmcnt(0)
	v_lshrrev_b32_e32 v55, 16, v53
	s_waitcnt vmcnt(0)
	v_mul_f16_sdwa v57, v55, v56 dst_sel:DWORD dst_unused:UNUSED_PAD src0_sel:DWORD src1_sel:WORD_1
	v_fma_f16 v57, v53, v56, -v57
	v_mul_f16_sdwa v53, v53, v56 dst_sel:DWORD dst_unused:UNUSED_PAD src0_sel:DWORD src1_sel:WORD_1
	v_fma_f16 v53, v55, v56, v53
	global_load_dword v56, v33, s[4:5] offset:3120
	v_lshrrev_b32_e32 v55, 16, v54
	v_pack_b32_f16 v53, v57, v53
	s_waitcnt vmcnt(0)
	v_mul_f16_sdwa v57, v55, v56 dst_sel:DWORD dst_unused:UNUSED_PAD src0_sel:DWORD src1_sel:WORD_1
	v_fma_f16 v57, v54, v56, -v57
	v_mul_f16_sdwa v54, v54, v56 dst_sel:DWORD dst_unused:UNUSED_PAD src0_sel:DWORD src1_sel:WORD_1
	v_fma_f16 v54, v55, v56, v54
	global_load_dword v56, v33, s[4:5] offset:3360
	v_pack_b32_f16 v54, v57, v54
	ds_write2_b32 v52, v53, v54 offset0:80 offset1:140
	v_add_u32_e32 v54, 0xc00, v33
	ds_read2_b32 v[52:53], v54 offset0:72 offset1:132
	s_waitcnt lgkmcnt(0)
	v_lshrrev_b32_e32 v55, 16, v52
	s_waitcnt vmcnt(0)
	v_mul_f16_sdwa v57, v55, v56 dst_sel:DWORD dst_unused:UNUSED_PAD src0_sel:DWORD src1_sel:WORD_1
	v_fma_f16 v57, v52, v56, -v57
	v_mul_f16_sdwa v52, v52, v56 dst_sel:DWORD dst_unused:UNUSED_PAD src0_sel:DWORD src1_sel:WORD_1
	v_fma_f16 v52, v55, v56, v52
	global_load_dword v56, v33, s[4:5] offset:3600
	v_lshrrev_b32_e32 v55, 16, v53
	v_pack_b32_f16 v52, v57, v52
	s_waitcnt vmcnt(0)
	v_mul_f16_sdwa v57, v55, v56 dst_sel:DWORD dst_unused:UNUSED_PAD src0_sel:DWORD src1_sel:WORD_1
	v_fma_f16 v57, v53, v56, -v57
	v_mul_f16_sdwa v53, v53, v56 dst_sel:DWORD dst_unused:UNUSED_PAD src0_sel:DWORD src1_sel:WORD_1
	v_fma_f16 v53, v55, v56, v53
	v_pack_b32_f16 v53, v57, v53
	ds_write2_b32 v54, v52, v53 offset0:72 offset1:132
.LBB0_13:
	s_or_b64 exec, exec, s[2:3]
	s_waitcnt lgkmcnt(0)
	s_barrier
	s_and_saveexec_b64 s[2:3], vcc
	s_cbranch_execz .LBB0_15
; %bb.14:
	v_add_u32_e32 v12, 0x200, v33
	v_add_u32_e32 v19, 0xa00, v33
	ds_read2_b32 v[23:24], v33 offset1:60
	ds_read2_b32 v[25:26], v33 offset0:120 offset1:180
	ds_read2_b32 v[27:28], v12 offset0:112 offset1:172
	v_add_u32_e32 v12, 0x400, v33
	v_add_u32_e32 v14, 0x600, v33
	v_add_u32_e32 v17, 0x800, v33
	ds_read2_b32 v[21:22], v19 offset0:80 offset1:140
	v_add_u32_e32 v19, 0xc00, v33
	ds_read2_b32 v[12:13], v12 offset0:104 offset1:164
	ds_read2_b32 v[14:15], v14 offset0:96 offset1:156
	;; [unrolled: 1-line block ×4, first 2 shown]
	s_waitcnt lgkmcnt(7)
	v_lshrrev_b32_e32 v47, 16, v23
	v_lshrrev_b32_e32 v48, 16, v24
	s_waitcnt lgkmcnt(6)
	v_lshrrev_b32_e32 v49, 16, v25
	v_lshrrev_b32_e32 v46, 16, v26
	;; [unrolled: 3-line block ×6, first 2 shown]
	v_lshrrev_b32_e32 v42, 16, v21
	v_lshrrev_b32_e32 v41, 16, v22
	s_waitcnt lgkmcnt(0)
	v_lshrrev_b32_e32 v40, 16, v19
	v_lshrrev_b32_e32 v39, 16, v20
.LBB0_15:
	s_or_b64 exec, exec, s[2:3]
	v_sub_f16_e32 v45, v47, v45
	v_sub_f16_e32 v42, v51, v42
	;; [unrolled: 1-line block ×5, first 2 shown]
	v_fma_f16 v47, v47, 2.0, -v45
	v_sub_f16_e32 v21, v27, v21
	v_fma_f16 v51, v51, 2.0, -v42
	v_sub_f16_e32 v17, v25, v17
	;; [unrolled: 2-line block ×3, first 2 shown]
	v_fma_f16 v43, v43, 2.0, -v40
	v_fma_f16 v23, v23, 2.0, -v14
	v_fma_f16 v27, v27, 2.0, -v21
	v_fma_f16 v25, v25, 2.0, -v17
	v_fma_f16 v12, v12, 2.0, -v19
	v_sub_f16_e32 v51, v47, v51
	v_sub_f16_e32 v21, v45, v21
	;; [unrolled: 1-line block ×13, first 2 shown]
	v_fma_f16 v47, v47, 2.0, -v51
	v_add_f16_e32 v42, v42, v14
	v_fma_f16 v45, v45, 2.0, -v21
	v_sub_f16_e32 v12, v25, v12
	v_fma_f16 v49, v49, 2.0, -v43
	v_add_f16_e32 v40, v40, v17
	v_fma_f16 v38, v38, 2.0, -v19
	s_mov_b32 s2, 0xb9a8
	v_fma_f16 v24, v24, 2.0, -v15
	v_fma_f16 v48, v48, 2.0, -v44
	;; [unrolled: 1-line block ×12, first 2 shown]
	v_add_f16_e32 v41, v41, v15
	v_add_f16_e32 v39, v39, v18
	v_sub_f16_e32 v49, v47, v49
	v_fma_f16 v53, v38, s2, v45
	s_movk_i32 s3, 0x39a8
	v_sub_f16_e32 v28, v24, v28
	v_sub_f16_e32 v50, v48, v50
	;; [unrolled: 1-line block ×3, first 2 shown]
	v_fma_f16 v15, v15, 2.0, -v41
	v_sub_f16_e32 v13, v26, v13
	v_sub_f16_e32 v32, v46, v32
	;; [unrolled: 1-line block ×3, first 2 shown]
	v_fma_f16 v18, v18, 2.0, -v39
	v_sub_f16_e32 v52, v23, v25
	v_fma_f16 v25, v47, 2.0, -v49
	v_fma_f16 v47, v17, s2, v14
	v_fma_f16 v53, v17, s2, v53
	;; [unrolled: 1-line block ×3, first 2 shown]
	v_fma_f16 v24, v24, 2.0, -v28
	v_fma_f16 v48, v48, 2.0, -v50
	;; [unrolled: 1-line block ×6, first 2 shown]
	v_sub_f16_e32 v56, v51, v12
	v_fma_f16 v58, v40, s2, v17
	v_fma_f16 v17, v18, s2, v15
	v_fma_f16 v54, v38, s3, v47
	v_add_f16_e32 v55, v43, v27
	v_fma_f16 v43, v51, 2.0, -v56
	v_fma_f16 v12, v40, s3, v42
	v_sub_f16_e32 v51, v24, v26
	v_sub_f16_e32 v46, v48, v46
	v_fma_f16 v26, v37, s2, v44
	v_fma_f16 v37, v37, s3, v17
	v_fma_f16 v14, v14, 2.0, -v54
	v_fma_f16 v57, v19, s3, v12
	v_fma_f16 v12, v24, 2.0, -v51
	v_fma_f16 v24, v48, 2.0, -v46
	v_fma_f16 v48, v18, s2, v26
	v_fma_f16 v15, v15, 2.0, -v37
	v_sub_f16_e32 v60, v50, v13
	v_fma_f16 v13, v39, s3, v41
	v_fma_f16 v17, v20, s3, v22
	s_mov_b32 s4, 0xbb64
	v_fma_f16 v23, v23, 2.0, -v52
	v_fma_f16 v38, v45, 2.0, -v53
	v_fma_f16 v18, v44, 2.0, -v48
	v_add_f16_e32 v59, v32, v28
	v_fma_f16 v40, v50, 2.0, -v60
	v_fma_f16 v61, v20, s3, v13
	v_fma_f16 v50, v39, s2, v17
	;; [unrolled: 1-line block ×3, first 2 shown]
	s_movk_i32 s5, 0x361f
	v_fma_f16 v27, v27, 2.0, -v55
	v_fma_f16 v21, v21, 2.0, -v58
	;; [unrolled: 1-line block ×4, first 2 shown]
	v_sub_f16_e32 v17, v23, v12
	v_sub_f16_e32 v32, v25, v24
	v_fma_f16 v24, v18, s4, v38
	v_fma_f16 v18, v18, s5, v13
	s_mov_b32 s14, 0xb61f
	v_fma_f16 v19, v42, 2.0, -v57
	v_fma_f16 v20, v41, 2.0, -v61
	;; [unrolled: 1-line block ×4, first 2 shown]
	v_fma_f16 v26, v15, s14, v24
	v_fma_f16 v13, v14, 2.0, -v18
	v_fma_f16 v14, v28, s2, v27
	v_fma_f16 v15, v40, s2, v43
	v_fma_f16 v25, v22, s14, v21
	v_fma_f16 v40, v40, s3, v14
	v_fma_f16 v42, v28, s2, v15
	v_fma_f16 v15, v20, s14, v19
	s_movk_i32 s15, 0x3b64
	v_fma_f16 v47, v20, s4, v25
	v_fma_f16 v14, v27, 2.0, -v40
	v_fma_f16 v27, v43, 2.0, -v42
	v_fma_f16 v45, v22, s15, v15
	v_fma_f16 v25, v21, 2.0, -v47
	v_sub_f16_e32 v43, v49, v51
	v_fma_f16 v21, v48, s5, v53
	v_fma_f16 v22, v60, s3, v56
	v_fma_f16 v24, v38, 2.0, -v26
	v_add_f16_e32 v41, v46, v52
	v_fma_f16 v38, v49, 2.0, -v43
	v_fma_f16 v20, v37, s5, v54
	v_fma_f16 v46, v37, s4, v21
	;; [unrolled: 1-line block ×10, first 2 shown]
	v_fma_f16 v15, v19, 2.0, -v45
	v_fma_f16 v19, v52, 2.0, -v41
	;; [unrolled: 1-line block ×8, first 2 shown]
	s_barrier
	s_and_saveexec_b64 s[2:3], vcc
	s_cbranch_execz .LBB0_17
; %bb.16:
	s_mov_b32 s4, 0x5040100
	v_lshlrev_b32_e32 v36, 2, v36
	v_perm_b32 v55, v25, v15, s4
	v_perm_b32 v54, v27, v14, s4
	;; [unrolled: 1-line block ×4, first 2 shown]
	ds_write_b128 v36, v[52:55]
	v_perm_b32 v55, v37, v22, s4
	v_perm_b32 v54, v39, v21, s4
	;; [unrolled: 1-line block ×4, first 2 shown]
	ds_write_b128 v36, v[52:55] offset:16
	v_perm_b32 v55, v47, v45, s4
	v_perm_b32 v54, v42, v40, s4
	;; [unrolled: 1-line block ×8, first 2 shown]
	ds_write_b128 v36, v[52:55] offset:32
	ds_write_b128 v36, v[47:50] offset:48
.LBB0_17:
	s_or_b64 exec, exec, s[2:3]
	s_waitcnt lgkmcnt(0)
	s_barrier
	s_and_saveexec_b64 s[2:3], s[0:1]
	s_cbranch_execz .LBB0_19
; %bb.18:
	v_add_u32_e32 v17, 0x400, v33
	ds_read2_b32 v[19:20], v17 offset0:128 offset1:224
	v_add_u32_e32 v17, 0x800, v33
	v_add_u32_e32 v14, 0x200, v33
	ds_read2_b32 v[21:22], v17 offset0:64 offset1:160
	v_add_u32_e32 v17, 0xc00, v33
	ds_read2_b32 v[12:13], v33 offset1:96
	ds_read2_b32 v[14:15], v14 offset0:64 offset1:160
	ds_read2_b32 v[17:18], v17 offset1:96
	s_waitcnt lgkmcnt(4)
	v_lshrrev_b32_e32 v38, 16, v19
	v_lshrrev_b32_e32 v28, 16, v20
	s_waitcnt lgkmcnt(2)
	v_lshrrev_b32_e32 v23, 16, v12
	v_lshrrev_b32_e32 v24, 16, v13
	;; [unrolled: 3-line block ×3, first 2 shown]
	v_lshrrev_b32_e32 v39, 16, v21
	v_lshrrev_b32_e32 v37, 16, v22
	s_waitcnt lgkmcnt(0)
	v_lshrrev_b32_e32 v32, 16, v17
	v_lshrrev_b32_e32 v26, 16, v18
.LBB0_19:
	s_or_b64 exec, exec, s[2:3]
	s_barrier
	s_and_saveexec_b64 s[2:3], s[0:1]
	s_cbranch_execz .LBB0_21
; %bb.20:
	v_mul_f16_sdwa v36, v5, v14 dst_sel:DWORD dst_unused:UNUSED_PAD src0_sel:WORD_1 src1_sel:DWORD
	v_fma_f16 v36, v5, v27, -v36
	v_mul_f16_sdwa v27, v5, v27 dst_sel:DWORD dst_unused:UNUSED_PAD src0_sel:WORD_1 src1_sel:DWORD
	v_mul_f16_sdwa v40, v7, v19 dst_sel:DWORD dst_unused:UNUSED_PAD src0_sel:WORD_1 src1_sel:DWORD
	v_fma_f16 v5, v5, v14, v27
	v_mul_f16_sdwa v27, v7, v38 dst_sel:DWORD dst_unused:UNUSED_PAD src0_sel:WORD_1 src1_sel:DWORD
	v_fma_f16 v40, v7, v38, -v40
	v_mul_f16_sdwa v42, v3, v17 dst_sel:DWORD dst_unused:UNUSED_PAD src0_sel:WORD_1 src1_sel:DWORD
	v_mul_f16_sdwa v43, v1, v21 dst_sel:DWORD dst_unused:UNUSED_PAD src0_sel:WORD_1 src1_sel:DWORD
	v_fma_f16 v7, v7, v19, v27
	v_mul_f16_sdwa v19, v1, v39 dst_sel:DWORD dst_unused:UNUSED_PAD src0_sel:WORD_1 src1_sel:DWORD
	v_fma_f16 v42, v3, v32, -v42
	v_fma_f16 v43, v1, v39, -v43
	v_fma_f16 v1, v1, v21, v19
	v_mul_f16_sdwa v21, v6, v25 dst_sel:DWORD dst_unused:UNUSED_PAD src0_sel:WORD_1 src1_sel:DWORD
	v_mul_f16_sdwa v27, v0, v28 dst_sel:DWORD dst_unused:UNUSED_PAD src0_sel:WORD_1 src1_sel:DWORD
	;; [unrolled: 1-line block ×4, first 2 shown]
	v_fma_f16 v21, v6, v15, v21
	v_fma_f16 v27, v0, v20, v27
	;; [unrolled: 1-line block ×4, first 2 shown]
	v_sub_f16_e32 v47, v40, v36
	v_sub_f16_e32 v48, v43, v42
	v_mul_f16_sdwa v14, v3, v32 dst_sel:DWORD dst_unused:UNUSED_PAD src0_sel:WORD_1 src1_sel:DWORD
	v_sub_f16_e32 v32, v21, v27
	v_sub_f16_e32 v45, v38, v39
	v_mul_f16_sdwa v15, v6, v15 dst_sel:DWORD dst_unused:UNUSED_PAD src0_sel:WORD_1 src1_sel:DWORD
	v_mul_f16_sdwa v20, v0, v20 dst_sel:DWORD dst_unused:UNUSED_PAD src0_sel:WORD_1 src1_sel:DWORD
	v_add_f16_e32 v47, v48, v47
	v_add_f16_e32 v48, v42, v36
	v_fma_f16 v3, v3, v17, v14
	s_mov_b32 s0, 0xbb9c
	v_sub_f16_e32 v19, v7, v1
	v_add_f16_e32 v32, v45, v32
	v_mul_f16_sdwa v45, v4, v24 dst_sel:DWORD dst_unused:UNUSED_PAD src0_sel:WORD_1 src1_sel:DWORD
	v_fma_f16 v6, v6, v25, -v15
	v_mul_f16_sdwa v15, v35, v18 dst_sel:DWORD dst_unused:UNUSED_PAD src0_sel:WORD_1 src1_sel:DWORD
	s_movk_i32 s5, 0x3b9c
	v_fma_f16 v0, v0, v28, -v20
	v_mul_f16_sdwa v20, v2, v22 dst_sel:DWORD dst_unused:UNUSED_PAD src0_sel:WORD_1 src1_sel:DWORD
	v_fma_f16 v48, v48, -0.5, v23
	v_sub_f16_e32 v50, v27, v21
	v_sub_f16_e32 v51, v39, v38
	;; [unrolled: 1-line block ×3, first 2 shown]
	s_mov_b32 s1, 0xb8b4
	v_fma_f16 v45, v4, v13, v45
	v_add_f16_e32 v46, v39, v27
	v_fma_f16 v15, v35, v26, -v15
	v_fma_f16 v2, v2, v37, -v20
	s_movk_i32 s14, 0x38b4
	v_fma_f16 v49, v19, s5, v48
	v_add_f16_e32 v50, v51, v50
	v_add_f16_e32 v51, v38, v21
	v_fma_f16 v48, v19, s0, v48
	s_movk_i32 s4, 0x34f2
	v_fma_f16 v46, v46, -0.5, v45
	v_sub_f16_e32 v18, v6, v15
	v_sub_f16_e32 v20, v0, v2
	v_mul_f16_sdwa v13, v4, v13 dst_sel:DWORD dst_unused:UNUSED_PAD src0_sel:WORD_1 src1_sel:DWORD
	v_fma_f16 v49, v14, s1, v49
	v_fma_f16 v51, v51, -0.5, v45
	v_fma_f16 v48, v14, s14, v48
	v_fma_f16 v25, v18, s5, v46
	v_fma_f16 v4, v4, v24, -v13
	v_add_f16_e32 v13, v2, v0
	v_fma_f16 v49, v47, s4, v49
	v_fma_f16 v52, v20, s0, v51
	v_sub_f16_e32 v53, v0, v6
	v_sub_f16_e32 v54, v2, v15
	v_fma_f16 v47, v47, s4, v48
	v_fma_f16 v48, v20, s5, v51
	;; [unrolled: 1-line block ×3, first 2 shown]
	v_sub_f16_e32 v25, v6, v0
	v_sub_f16_e32 v26, v15, v2
	v_fma_f16 v13, v13, -0.5, v4
	v_sub_f16_e32 v24, v21, v38
	v_fma_f16 v52, v18, s14, v52
	v_add_f16_e32 v53, v54, v53
	v_add_f16_e32 v54, v15, v6
	v_fma_f16 v48, v18, s1, v48
	v_fma_f16 v18, v18, s0, v46
	v_add_f16_e32 v25, v26, v25
	v_fma_f16 v26, v24, s0, v13
	v_sub_f16_e32 v28, v27, v39
	v_fma_f16 v54, v54, -0.5, v4
	v_fma_f16 v18, v20, s1, v18
	v_fma_f16 v13, v24, s5, v13
	;; [unrolled: 1-line block ×10, first 2 shown]
	v_add_f16_e32 v4, v6, v4
	v_sub_f16_e32 v28, v7, v5
	v_sub_f16_e32 v32, v1, v3
	v_add_f16_e32 v0, v0, v4
	v_sub_f16_e32 v4, v5, v7
	v_add_f16_e32 v28, v32, v28
	v_add_f16_e32 v32, v3, v5
	;; [unrolled: 1-line block ×3, first 2 shown]
	v_sub_f16_e32 v6, v3, v1
	v_add_f16_e32 v5, v7, v5
	v_sub_f16_e32 v41, v36, v40
	v_sub_f16_e32 v44, v42, v43
	v_add_f16_e32 v0, v2, v0
	v_add_f16_e32 v4, v6, v4
	;; [unrolled: 1-line block ×7, first 2 shown]
	v_fma_f16 v6, v6, -0.5, v12
	v_sub_f16_e32 v15, v36, v42
	v_add_f16_e32 v1, v3, v1
	v_add_f16_e32 v3, v21, v45
	v_fma_f16 v44, v44, -0.5, v23
	v_fma_f16 v26, v25, s4, v26
	v_fma_f16 v55, v24, s1, v55
	;; [unrolled: 1-line block ×4, first 2 shown]
	v_add_f16_e32 v23, v36, v23
	v_fma_f16 v24, v15, s5, v6
	v_sub_f16_e32 v25, v40, v43
	v_fma_f16 v32, v32, -0.5, v12
	v_fma_f16 v6, v15, s0, v6
	v_add_f16_e32 v3, v27, v3
	v_fma_f16 v17, v14, s0, v44
	v_fma_f16 v14, v14, s5, v44
	v_add_f16_e32 v23, v40, v23
	v_fma_f16 v24, v25, s14, v24
	v_fma_f16 v36, v25, s0, v32
	;; [unrolled: 1-line block ×4, first 2 shown]
	v_add_f16_e32 v3, v39, v3
	v_fma_f16 v17, v19, s1, v17
	v_fma_f16 v55, v53, s4, v55
	;; [unrolled: 1-line block ×4, first 2 shown]
	s_movk_i32 s17, 0x3a79
	v_mul_f16_e32 v19, 0x3a79, v13
	v_add_f16_e32 v23, v43, v23
	v_fma_f16 v24, v4, s4, v24
	v_fma_f16 v36, v15, s14, v36
	;; [unrolled: 1-line block ×4, first 2 shown]
	v_mul_f16_e32 v6, 0xb8b4, v13
	v_add_f16_e32 v3, v38, v3
	s_mov_b32 s16, 0xb4f2
	v_mul_f16_e32 v56, 0xb4f2, v55
	v_mul_f16_e32 v51, 0x34f2, v50
	v_fma_f16 v14, v41, s4, v14
	v_fma_f16 v19, v18, s14, v19
	v_add_f16_e32 v23, v42, v23
	v_fma_f16 v36, v28, s4, v36
	v_mul_f16_e32 v40, 0xbb9c, v55
	v_fma_f16 v28, v28, s4, v32
	v_mul_f16_e32 v32, 0xbb9c, v50
	v_fma_f16 v6, v18, s17, v6
	v_sub_f16_e32 v5, v1, v3
	v_add_f16_e32 v1, v1, v3
	v_mul_u32_u24_e32 v3, 0xa0, v30
	s_mov_b32 s15, 0xba79
	v_mul_f16_e32 v35, 0xba79, v26
	v_fma_f16 v56, v52, s5, v56
	v_fma_f16 v51, v48, s5, v51
	v_sub_f16_e32 v20, v14, v19
	v_sub_f16_e32 v2, v23, v0
	v_mul_f16_e32 v26, 0xb8b4, v26
	v_fma_f16 v40, v52, s16, v40
	v_fma_f16 v32, v48, s4, v32
	v_sub_f16_e32 v13, v4, v6
	v_add_f16_e32 v14, v14, v19
	v_add_f16_e32 v0, v23, v0
	;; [unrolled: 1-line block ×3, first 2 shown]
	v_or_b32_e32 v3, v3, v29
	v_fma_f16 v17, v41, s4, v17
	v_fma_f16 v35, v22, s14, v35
	;; [unrolled: 1-line block ×3, first 2 shown]
	v_add_f16_e32 v12, v49, v56
	v_add_f16_e32 v15, v47, v51
	;; [unrolled: 1-line block ×4, first 2 shown]
	v_lshlrev_b32_e32 v3, 2, v3
	v_pack_b32_f16 v0, v1, v0
	v_pack_b32_f16 v1, v4, v14
	v_sub_f16_e32 v37, v17, v35
	v_add_f16_e32 v7, v17, v35
	v_add_f16_e32 v17, v24, v22
	ds_write2_b32 v3, v0, v1 offset1:16
	v_pack_b32_f16 v0, v19, v15
	v_pack_b32_f16 v1, v18, v12
	v_sub_f16_e32 v53, v47, v51
	v_sub_f16_e32 v42, v28, v32
	ds_write2_b32 v3, v0, v1 offset0:32 offset1:48
	v_pack_b32_f16 v0, v17, v7
	v_pack_b32_f16 v1, v5, v2
	v_sub_f16_e32 v57, v49, v56
	v_sub_f16_e32 v26, v24, v22
	;; [unrolled: 1-line block ×3, first 2 shown]
	ds_write2_b32 v3, v0, v1 offset0:64 offset1:80
	v_pack_b32_f16 v0, v13, v20
	v_pack_b32_f16 v1, v42, v53
	ds_write2_b32 v3, v0, v1 offset0:96 offset1:112
	v_pack_b32_f16 v0, v41, v57
	v_pack_b32_f16 v1, v26, v37
	ds_write2_b32 v3, v0, v1 offset0:128 offset1:144
.LBB0_21:
	s_or_b64 exec, exec, s[2:3]
	s_waitcnt lgkmcnt(0)
	s_barrier
	ds_read2_b32 v[0:1], v33 offset1:160
	v_add_u32_e32 v12, 0x400, v33
	ds_read2_b32 v[2:3], v12 offset0:64 offset1:224
	v_add_u32_e32 v7, 0xa00, v33
	ds_read2_b32 v[4:5], v7 offset1:160
	s_waitcnt lgkmcnt(2)
	v_lshrrev_b32_e32 v13, 16, v1
	v_mul_f16_sdwa v19, v8, v13 dst_sel:DWORD dst_unused:UNUSED_PAD src0_sel:WORD_1 src1_sel:DWORD
	s_waitcnt lgkmcnt(1)
	v_lshrrev_b32_e32 v14, 16, v2
	v_fma_f16 v19, v8, v1, v19
	v_mul_f16_sdwa v1, v8, v1 dst_sel:DWORD dst_unused:UNUSED_PAD src0_sel:WORD_1 src1_sel:DWORD
	v_fma_f16 v1, v8, v13, -v1
	v_mul_f16_sdwa v8, v9, v14 dst_sel:DWORD dst_unused:UNUSED_PAD src0_sel:WORD_1 src1_sel:DWORD
	v_lshrrev_b32_e32 v15, 16, v3
	v_fma_f16 v8, v9, v2, v8
	v_mul_f16_sdwa v2, v9, v2 dst_sel:DWORD dst_unused:UNUSED_PAD src0_sel:WORD_1 src1_sel:DWORD
	v_fma_f16 v2, v9, v14, -v2
	v_mul_f16_sdwa v9, v10, v15 dst_sel:DWORD dst_unused:UNUSED_PAD src0_sel:WORD_1 src1_sel:DWORD
	s_waitcnt lgkmcnt(0)
	v_lshrrev_b32_e32 v17, 16, v4
	v_fma_f16 v9, v10, v3, v9
	v_mul_f16_sdwa v3, v10, v3 dst_sel:DWORD dst_unused:UNUSED_PAD src0_sel:WORD_1 src1_sel:DWORD
	v_fma_f16 v3, v10, v15, -v3
	v_mul_f16_sdwa v10, v11, v17 dst_sel:DWORD dst_unused:UNUSED_PAD src0_sel:WORD_1 src1_sel:DWORD
	v_fma_f16 v10, v11, v4, v10
	v_mul_f16_sdwa v4, v11, v4 dst_sel:DWORD dst_unused:UNUSED_PAD src0_sel:WORD_1 src1_sel:DWORD
	v_lshrrev_b32_e32 v18, 16, v5
	v_fma_f16 v4, v11, v17, -v4
	v_add_f16_e32 v14, v8, v10
	v_lshrrev_b32_e32 v6, 16, v0
	v_mul_f16_sdwa v11, v31, v18 dst_sel:DWORD dst_unused:UNUSED_PAD src0_sel:WORD_1 src1_sel:DWORD
	v_add_f16_e32 v13, v0, v8
	v_fma_f16 v0, v14, -0.5, v0
	v_sub_f16_e32 v14, v2, v4
	s_mov_b32 s0, 0xbaee
	s_movk_i32 s1, 0x3aee
	v_fma_f16 v11, v31, v5, v11
	v_mul_f16_sdwa v5, v31, v5 dst_sel:DWORD dst_unused:UNUSED_PAD src0_sel:WORD_1 src1_sel:DWORD
	v_fma_f16 v15, v14, s0, v0
	v_fma_f16 v0, v14, s1, v0
	v_add_f16_e32 v14, v6, v2
	v_fma_f16 v5, v31, v18, -v5
	v_add_f16_e32 v14, v14, v4
	v_add_f16_e32 v2, v2, v4
	v_sub_f16_e32 v4, v8, v10
	v_add_f16_e32 v8, v9, v11
	v_add_f16_e32 v13, v13, v10
	v_fma_f16 v8, v8, -0.5, v19
	v_sub_f16_e32 v10, v3, v5
	v_fma_f16 v17, v10, s0, v8
	v_fma_f16 v8, v10, s1, v8
	v_add_f16_e32 v10, v1, v3
	v_add_f16_e32 v3, v3, v5
	v_fma_f16 v1, v3, -0.5, v1
	v_sub_f16_e32 v3, v9, v11
	v_fma_f16 v2, v2, -0.5, v6
	v_add_f16_e32 v10, v10, v5
	v_fma_f16 v5, v3, s1, v1
	v_fma_f16 v6, v4, s1, v2
	;; [unrolled: 1-line block ×3, first 2 shown]
	v_add_f16_e32 v4, v19, v9
	v_fma_f16 v1, v3, s0, v1
	v_mul_f16_e32 v9, 0xbaee, v5
	v_mul_f16_e32 v5, 0.5, v5
	v_add_f16_e32 v4, v4, v11
	v_fma_f16 v9, v17, 0.5, v9
	v_mul_f16_e32 v18, 0xbaee, v1
	v_fma_f16 v5, v17, s1, v5
	v_mul_f16_e32 v1, -0.5, v1
	v_add_f16_e32 v3, v13, v4
	v_add_f16_e32 v11, v15, v9
	v_fma_f16 v18, v8, -0.5, v18
	v_add_f16_e32 v20, v14, v10
	v_add_f16_e32 v17, v6, v5
	v_fma_f16 v1, v8, s1, v1
	v_add_f16_e32 v19, v0, v18
	v_add_f16_e32 v8, v2, v1
	v_sub_f16_e32 v4, v13, v4
	v_sub_f16_e32 v10, v14, v10
	;; [unrolled: 1-line block ×3, first 2 shown]
	v_pack_b32_f16 v2, v3, v20
	v_pack_b32_f16 v3, v11, v17
	v_sub_f16_e32 v9, v15, v9
	v_sub_f16_e32 v0, v0, v18
	;; [unrolled: 1-line block ×3, first 2 shown]
	ds_write2_b32 v33, v2, v3 offset1:160
	v_pack_b32_f16 v2, v19, v8
	v_pack_b32_f16 v3, v4, v10
	ds_write2_b32 v12, v2, v3 offset0:64 offset1:224
	v_pack_b32_f16 v2, v9, v5
	v_pack_b32_f16 v0, v0, v1
	ds_write2_b32 v7, v2, v0 offset1:160
	s_waitcnt lgkmcnt(0)
	s_barrier
	s_and_b64 exec, exec, vcc
	s_cbranch_execz .LBB0_23
; %bb.22:
	global_load_dword v10, v33, s[6:7]
	global_load_dword v9, v33, s[6:7] offset:240
	ds_read_b32 v17, v33
	v_mad_u64_u32 v[4:5], s[0:1], s10, v16, 0
	v_mad_u64_u32 v[2:3], s[0:1], s8, v34, 0
	v_mov_b32_e32 v6, 0x7c00
	v_mad_u64_u32 v[18:19], s[0:1], s11, v16, v[5:6]
	s_waitcnt lgkmcnt(0)
	v_lshrrev_b32_e32 v5, 16, v17
	v_mad_u64_u32 v[19:20], s[0:1], s9, v34, v[3:4]
	ds_read2_b32 v[0:1], v33 offset0:60 offset1:120
	s_mov_b32 s14, 0x11111111
	s_mov_b32 s15, 0x3f511111
	s_movk_i32 s18, 0x1ff
	global_load_dword v11, v33, s[6:7] offset:480
	global_load_dword v13, v33, s[6:7] offset:720
	;; [unrolled: 1-line block ×4, first 2 shown]
	s_waitcnt lgkmcnt(0)
	v_lshrrev_b32_e32 v22, 16, v0
	s_movk_i32 s17, 0xffe
	s_movk_i32 s16, 0x40f
	s_mov_b32 s10, 0x8000
	ds_read_b32 v8, v33 offset:1920
	s_waitcnt vmcnt(5)
	v_mul_f16_sdwa v3, v5, v10 dst_sel:DWORD dst_unused:UNUSED_PAD src0_sel:DWORD src1_sel:WORD_1
	v_fma_f16 v3, v17, v10, v3
	v_mul_f16_sdwa v16, v17, v10 dst_sel:DWORD dst_unused:UNUSED_PAD src0_sel:DWORD src1_sel:WORD_1
	v_cvt_f32_f16_e32 v3, v3
	v_fma_f16 v5, v10, v5, -v16
	v_cvt_f32_f16_e32 v10, v5
	v_mov_b32_e32 v5, v18
	v_cvt_f64_f32_e32 v[16:17], v3
	s_waitcnt vmcnt(4)
	v_mul_f16_sdwa v3, v22, v9 dst_sel:DWORD dst_unused:UNUSED_PAD src0_sel:DWORD src1_sel:WORD_1
	v_cvt_f64_f32_e32 v[20:21], v10
	v_fma_f16 v3, v0, v9, v3
	v_mul_f64 v[16:17], v[16:17], s[14:15]
	v_cvt_f32_f16_e32 v10, v3
	v_mul_f64 v[20:21], v[20:21], s[14:15]
	v_mov_b32_e32 v3, v19
	v_lshlrev_b64 v[4:5], 2, v[4:5]
	v_cvt_f64_f32_e32 v[18:19], v10
	v_lshlrev_b64 v[2:3], 2, v[2:3]
	v_mul_f16_sdwa v0, v0, v9 dst_sel:DWORD dst_unused:UNUSED_PAD src0_sel:DWORD src1_sel:WORD_1
	v_and_or_b32 v10, v17, s18, v16
	v_cmp_ne_u32_e32 vcc, 0, v10
	v_and_or_b32 v20, v21, s18, v20
	v_lshrrev_b32_e32 v16, 8, v17
	v_bfe_u32 v23, v17, 20, 11
	v_cndmask_b32_e64 v10, 0, 1, vcc
	v_cmp_ne_u32_e32 vcc, 0, v20
	v_lshrrev_b32_e32 v24, 8, v21
	v_bfe_u32 v25, v21, 20, 11
	v_sub_u32_e32 v26, 0x3f1, v23
	v_cndmask_b32_e64 v20, 0, 1, vcc
	v_and_or_b32 v10, v16, s17, v10
	v_sub_u32_e32 v27, 0x3f1, v25
	v_med3_i32 v16, v26, 0, 13
	v_and_or_b32 v20, v24, s17, v20
	v_or_b32_e32 v26, 0x1000, v10
	v_add_u32_e32 v23, 0xfffffc10, v23
	v_med3_i32 v24, v27, 0, 13
	v_cmp_ne_u32_e32 vcc, 0, v10
	v_or_b32_e32 v28, 0x1000, v20
	v_lshrrev_b32_e32 v30, v16, v26
	v_add_u32_e32 v25, 0xfffffc10, v25
	v_lshl_or_b32 v27, v23, 12, v10
	v_cndmask_b32_e64 v10, 0, 1, vcc
	v_cmp_ne_u32_e32 vcc, 0, v20
	v_lshrrev_b32_e32 v31, v24, v28
	v_lshlrev_b32_e32 v16, v16, v30
	v_lshl_or_b32 v29, v25, 12, v20
	v_cndmask_b32_e64 v20, 0, 1, vcc
	v_lshlrev_b32_e32 v24, v24, v31
	v_cmp_ne_u32_e32 vcc, v16, v26
	v_cndmask_b32_e64 v16, 0, 1, vcc
	v_cmp_ne_u32_e32 vcc, v24, v28
	v_cndmask_b32_e64 v24, 0, 1, vcc
	v_or_b32_e32 v16, v30, v16
	v_cmp_gt_i32_e32 vcc, 1, v23
	v_cndmask_b32_e32 v16, v27, v16, vcc
	v_or_b32_e32 v24, v31, v24
	v_cmp_gt_i32_e32 vcc, 1, v25
	v_and_b32_e32 v26, 7, v16
	v_cndmask_b32_e32 v24, v29, v24, vcc
	v_cmp_lt_i32_e32 vcc, 5, v26
	v_cmp_eq_u32_e64 s[0:1], 3, v26
	v_lshrrev_b32_e32 v16, 2, v16
	v_and_b32_e32 v27, 7, v24
	s_or_b64 vcc, s[0:1], vcc
	v_cmp_lt_i32_e64 s[2:3], 5, v27
	v_cmp_eq_u32_e64 s[4:5], 3, v27
	v_addc_co_u32_e32 v16, vcc, 0, v16, vcc
	v_lshrrev_b32_e32 v24, 2, v24
	s_or_b64 vcc, s[4:5], s[2:3]
	v_addc_co_u32_e32 v24, vcc, 0, v24, vcc
	v_cmp_gt_i32_e32 vcc, 31, v23
	v_cndmask_b32_e32 v16, v6, v16, vcc
	v_cmp_gt_i32_e32 vcc, 31, v25
	v_lshl_or_b32 v10, v10, 9, v6
	v_cndmask_b32_e32 v24, v6, v24, vcc
	v_cmp_eq_u32_e32 vcc, s16, v23
	v_lshrrev_b32_e32 v17, 16, v17
	v_lshl_or_b32 v20, v20, 9, v6
	v_cndmask_b32_e32 v10, v16, v10, vcc
	v_cmp_eq_u32_e32 vcc, s16, v25
	v_lshrrev_b32_e32 v21, 16, v21
	v_cndmask_b32_e32 v16, v24, v20, vcc
	v_and_or_b32 v10, v17, s10, v10
	v_and_or_b32 v16, v21, s10, v16
	v_and_b32_e32 v10, 0xffff, v10
	v_lshl_or_b32 v10, v16, 16, v10
	v_mul_f64 v[16:17], v[18:19], s[14:15]
	v_mov_b32_e32 v20, s13
	v_add_co_u32_e32 v4, vcc, s12, v4
	v_addc_co_u32_e32 v5, vcc, v20, v5, vcc
	v_add_co_u32_e32 v2, vcc, v4, v2
	v_addc_co_u32_e32 v3, vcc, v5, v3, vcc
	v_and_or_b32 v4, v17, s18, v16
	v_cmp_ne_u32_e32 vcc, 0, v4
	v_cndmask_b32_e64 v4, 0, 1, vcc
	v_lshrrev_b32_e32 v5, 8, v17
	global_store_dword v[2:3], v10, off
	v_and_or_b32 v10, v5, s17, v4
	v_bfe_u32 v5, v17, 20, 11
	v_sub_u32_e32 v16, 0x3f1, v5
	v_or_b32_e32 v4, 0x1000, v10
	v_med3_i32 v16, v16, 0, 13
	v_lshrrev_b32_e32 v18, v16, v4
	v_lshlrev_b32_e32 v16, v16, v18
	v_cmp_ne_u32_e32 vcc, v16, v4
	v_fma_f16 v0, v9, v22, -v0
	v_cndmask_b32_e64 v4, 0, 1, vcc
	v_add_u32_e32 v16, 0xfffffc10, v5
	v_cvt_f32_f16_e32 v0, v0
	v_or_b32_e32 v4, v18, v4
	v_lshl_or_b32 v5, v16, 12, v10
	v_cmp_gt_i32_e32 vcc, 1, v16
	v_cndmask_b32_e32 v4, v5, v4, vcc
	v_and_b32_e32 v5, 7, v4
	v_cmp_lt_i32_e32 vcc, 5, v5
	v_cmp_eq_u32_e64 s[0:1], 3, v5
	v_lshrrev_b32_e32 v9, 2, v4
	v_cvt_f64_f32_e32 v[4:5], v0
	s_or_b64 vcc, s[0:1], vcc
	v_addc_co_u32_e32 v0, vcc, 0, v9, vcc
	v_mul_f64 v[4:5], v[4:5], s[14:15]
	v_cmp_gt_i32_e32 vcc, 31, v16
	v_cndmask_b32_e32 v0, v6, v0, vcc
	v_cmp_ne_u32_e32 vcc, 0, v10
	v_cndmask_b32_e64 v9, 0, 1, vcc
	v_lshl_or_b32 v9, v9, 9, v6
	v_cmp_eq_u32_e32 vcc, s16, v16
	v_cndmask_b32_e32 v0, v0, v9, vcc
	v_and_or_b32 v4, v5, s18, v4
	v_lshrrev_b32_e32 v9, 16, v17
	v_cmp_ne_u32_e32 vcc, 0, v4
	v_and_or_b32 v0, v9, s10, v0
	v_cndmask_b32_e64 v4, 0, 1, vcc
	v_lshrrev_b32_e32 v9, 8, v5
	v_bfe_u32 v10, v5, 20, 11
	v_and_or_b32 v4, v9, s17, v4
	v_sub_u32_e32 v16, 0x3f1, v10
	v_or_b32_e32 v9, 0x1000, v4
	v_med3_i32 v16, v16, 0, 13
	v_lshrrev_b32_e32 v17, v16, v9
	v_lshlrev_b32_e32 v16, v16, v17
	v_cmp_ne_u32_e32 vcc, v16, v9
	v_cndmask_b32_e64 v9, 0, 1, vcc
	v_add_u32_e32 v10, 0xfffffc10, v10
	v_or_b32_e32 v9, v17, v9
	v_lshl_or_b32 v16, v10, 12, v4
	v_cmp_gt_i32_e32 vcc, 1, v10
	v_cndmask_b32_e32 v9, v16, v9, vcc
	v_and_b32_e32 v16, 7, v9
	v_cmp_lt_i32_e32 vcc, 5, v16
	v_cmp_eq_u32_e64 s[0:1], 3, v16
	v_lshrrev_b32_e32 v9, 2, v9
	s_or_b64 vcc, s[0:1], vcc
	v_addc_co_u32_e32 v9, vcc, 0, v9, vcc
	v_cmp_gt_i32_e32 vcc, 31, v10
	v_cndmask_b32_e32 v9, v6, v9, vcc
	v_cmp_ne_u32_e32 vcc, 0, v4
	v_cndmask_b32_e64 v4, 0, 1, vcc
	v_lshl_or_b32 v4, v4, 9, v6
	v_cmp_eq_u32_e32 vcc, s16, v10
	v_cndmask_b32_e32 v4, v9, v4, vcc
	v_lshrrev_b32_e32 v9, 16, v1
	s_waitcnt vmcnt(4)
	v_mul_f16_sdwa v10, v9, v11 dst_sel:DWORD dst_unused:UNUSED_PAD src0_sel:DWORD src1_sel:WORD_1
	v_fma_f16 v10, v1, v11, v10
	v_cvt_f32_f16_e32 v10, v10
	v_lshrrev_b32_e32 v5, 16, v5
	v_and_or_b32 v4, v5, s10, v4
	v_and_b32_e32 v0, 0xffff, v0
	v_lshl_or_b32 v0, v4, 16, v0
	v_cvt_f64_f32_e32 v[4:5], v10
	s_mul_i32 s0, s9, 0xf0
	s_mul_hi_u32 s2, s8, 0xf0
	s_add_i32 s2, s2, s0
	v_mul_f64 v[4:5], v[4:5], s[14:15]
	s_mul_i32 s3, s8, 0xf0
	v_mov_b32_e32 v10, s2
	v_add_co_u32_e32 v2, vcc, s3, v2
	v_addc_co_u32_e32 v3, vcc, v3, v10, vcc
	global_store_dword v[2:3], v0, off
	v_and_or_b32 v0, v5, s18, v4
	v_cmp_ne_u32_e32 vcc, 0, v0
	v_cndmask_b32_e64 v0, 0, 1, vcc
	v_lshrrev_b32_e32 v4, 8, v5
	v_bfe_u32 v10, v5, 20, 11
	v_and_or_b32 v4, v4, s17, v0
	v_sub_u32_e32 v16, 0x3f1, v10
	v_or_b32_e32 v0, 0x1000, v4
	v_med3_i32 v16, v16, 0, 13
	v_lshrrev_b32_e32 v17, v16, v0
	v_mul_f16_sdwa v1, v1, v11 dst_sel:DWORD dst_unused:UNUSED_PAD src0_sel:DWORD src1_sel:WORD_1
	v_lshlrev_b32_e32 v16, v16, v17
	v_fma_f16 v1, v11, v9, -v1
	v_cmp_ne_u32_e32 vcc, v16, v0
	v_cvt_f32_f16_e32 v1, v1
	v_cndmask_b32_e64 v0, 0, 1, vcc
	v_add_u32_e32 v10, 0xfffffc10, v10
	v_or_b32_e32 v0, v17, v0
	v_lshl_or_b32 v16, v10, 12, v4
	v_cmp_gt_i32_e32 vcc, 1, v10
	v_cndmask_b32_e32 v0, v16, v0, vcc
	v_and_b32_e32 v16, 7, v0
	v_lshrrev_b32_e32 v9, 2, v0
	v_cvt_f64_f32_e32 v[0:1], v1
	v_cmp_lt_i32_e32 vcc, 5, v16
	v_cmp_eq_u32_e64 s[0:1], 3, v16
	s_or_b64 vcc, s[0:1], vcc
	v_mul_f64 v[0:1], v[0:1], s[14:15]
	v_addc_co_u32_e32 v9, vcc, 0, v9, vcc
	v_cmp_gt_i32_e32 vcc, 31, v10
	v_cndmask_b32_e32 v9, v6, v9, vcc
	v_cmp_ne_u32_e32 vcc, 0, v4
	v_cndmask_b32_e64 v4, 0, 1, vcc
	v_lshl_or_b32 v4, v4, 9, v6
	v_cmp_eq_u32_e32 vcc, s16, v10
	v_and_or_b32 v0, v1, s18, v0
	v_cndmask_b32_e32 v4, v9, v4, vcc
	v_lshrrev_b32_e32 v5, 16, v5
	v_cmp_ne_u32_e32 vcc, 0, v0
	v_and_or_b32 v11, v5, s10, v4
	v_cndmask_b32_e64 v0, 0, 1, vcc
	v_lshrrev_b32_e32 v4, 8, v1
	v_bfe_u32 v5, v1, 20, 11
	v_and_or_b32 v0, v4, s17, v0
	v_sub_u32_e32 v9, 0x3f1, v5
	v_or_b32_e32 v4, 0x1000, v0
	v_med3_i32 v9, v9, 0, 13
	v_lshrrev_b32_e32 v10, v9, v4
	v_lshlrev_b32_e32 v9, v9, v10
	v_cmp_ne_u32_e32 vcc, v9, v4
	v_cndmask_b32_e64 v4, 0, 1, vcc
	v_add_u32_e32 v9, 0xfffffc10, v5
	v_or_b32_e32 v4, v10, v4
	v_lshl_or_b32 v5, v9, 12, v0
	v_cmp_gt_i32_e32 vcc, 1, v9
	v_cndmask_b32_e32 v4, v5, v4, vcc
	v_and_b32_e32 v5, 7, v4
	v_cmp_lt_i32_e32 vcc, 5, v5
	v_cmp_eq_u32_e64 s[0:1], 3, v5
	v_lshrrev_b32_e32 v4, 2, v4
	s_or_b64 vcc, s[0:1], vcc
	v_addc_co_u32_e32 v10, vcc, 0, v4, vcc
	ds_read2_b32 v[4:5], v33 offset0:180 offset1:240
	v_cmp_gt_i32_e32 vcc, 31, v9
	v_cndmask_b32_e32 v10, v6, v10, vcc
	v_cmp_ne_u32_e32 vcc, 0, v0
	v_cndmask_b32_e64 v0, 0, 1, vcc
	s_waitcnt lgkmcnt(0)
	v_lshrrev_b32_e32 v16, 16, v4
	s_waitcnt vmcnt(4)
	v_mul_f16_sdwa v17, v16, v13 dst_sel:DWORD dst_unused:UNUSED_PAD src0_sel:DWORD src1_sel:WORD_1
	v_fma_f16 v17, v4, v13, v17
	v_cvt_f32_f16_e32 v17, v17
	v_lshl_or_b32 v0, v0, 9, v6
	v_cmp_eq_u32_e32 vcc, s16, v9
	v_cndmask_b32_e32 v0, v10, v0, vcc
	v_cvt_f64_f32_e32 v[9:10], v17
	v_lshrrev_b32_e32 v1, 16, v1
	v_and_or_b32 v17, v1, s10, v0
	v_add_co_u32_e32 v2, vcc, s3, v2
	v_mul_f64 v[0:1], v[9:10], s[14:15]
	v_mov_b32_e32 v10, s2
	v_and_b32_e32 v11, 0xffff, v11
	v_addc_co_u32_e32 v3, vcc, v3, v10, vcc
	v_lshl_or_b32 v9, v17, 16, v11
	global_store_dword v[2:3], v9, off
	v_mul_f16_sdwa v4, v4, v13 dst_sel:DWORD dst_unused:UNUSED_PAD src0_sel:DWORD src1_sel:WORD_1
	v_and_or_b32 v0, v1, s18, v0
	v_cmp_ne_u32_e32 vcc, 0, v0
	v_cndmask_b32_e64 v0, 0, 1, vcc
	v_lshrrev_b32_e32 v9, 8, v1
	v_bfe_u32 v10, v1, 20, 11
	v_and_or_b32 v0, v9, s17, v0
	v_sub_u32_e32 v11, 0x3f1, v10
	v_or_b32_e32 v9, 0x1000, v0
	v_med3_i32 v11, v11, 0, 13
	v_lshrrev_b32_e32 v17, v11, v9
	v_lshlrev_b32_e32 v11, v11, v17
	v_cmp_ne_u32_e32 vcc, v11, v9
	v_fma_f16 v4, v13, v16, -v4
	v_cndmask_b32_e64 v9, 0, 1, vcc
	v_add_u32_e32 v11, 0xfffffc10, v10
	v_cvt_f32_f16_e32 v4, v4
	v_or_b32_e32 v9, v17, v9
	v_lshl_or_b32 v10, v11, 12, v0
	v_cmp_gt_i32_e32 vcc, 1, v11
	v_cndmask_b32_e32 v9, v10, v9, vcc
	v_and_b32_e32 v10, 7, v9
	v_cmp_lt_i32_e32 vcc, 5, v10
	v_cmp_eq_u32_e64 s[0:1], 3, v10
	v_lshrrev_b32_e32 v13, 2, v9
	v_cvt_f64_f32_e32 v[9:10], v4
	s_or_b64 vcc, s[0:1], vcc
	v_addc_co_u32_e32 v4, vcc, 0, v13, vcc
	v_mul_f64 v[9:10], v[9:10], s[14:15]
	v_cmp_gt_i32_e32 vcc, 31, v11
	v_cndmask_b32_e32 v4, v6, v4, vcc
	v_cmp_ne_u32_e32 vcc, 0, v0
	v_cndmask_b32_e64 v0, 0, 1, vcc
	v_lshl_or_b32 v0, v0, 9, v6
	v_cmp_eq_u32_e32 vcc, s16, v11
	v_cndmask_b32_e32 v0, v4, v0, vcc
	v_lshrrev_b32_e32 v1, 16, v1
	v_and_or_b32 v4, v1, s10, v0
	v_and_or_b32 v0, v10, s18, v9
	v_cmp_ne_u32_e32 vcc, 0, v0
	v_cndmask_b32_e64 v0, 0, 1, vcc
	v_lshrrev_b32_e32 v1, 8, v10
	v_bfe_u32 v9, v10, 20, 11
	v_and_or_b32 v0, v1, s17, v0
	v_sub_u32_e32 v11, 0x3f1, v9
	v_or_b32_e32 v1, 0x1000, v0
	v_med3_i32 v11, v11, 0, 13
	v_lshrrev_b32_e32 v13, v11, v1
	v_lshlrev_b32_e32 v11, v11, v13
	v_cmp_ne_u32_e32 vcc, v11, v1
	v_cndmask_b32_e64 v1, 0, 1, vcc
	v_add_u32_e32 v9, 0xfffffc10, v9
	v_or_b32_e32 v1, v13, v1
	v_lshl_or_b32 v11, v9, 12, v0
	v_cmp_gt_i32_e32 vcc, 1, v9
	v_cndmask_b32_e32 v1, v11, v1, vcc
	v_and_b32_e32 v11, 7, v1
	v_cmp_lt_i32_e32 vcc, 5, v11
	v_cmp_eq_u32_e64 s[0:1], 3, v11
	v_lshrrev_b32_e32 v11, 16, v5
	v_lshrrev_b32_e32 v1, 2, v1
	s_or_b64 vcc, s[0:1], vcc
	s_waitcnt vmcnt(4)
	v_mul_f16_sdwa v13, v11, v14 dst_sel:DWORD dst_unused:UNUSED_PAD src0_sel:DWORD src1_sel:WORD_1
	v_addc_co_u32_e32 v1, vcc, 0, v1, vcc
	v_fma_f16 v13, v5, v14, v13
	v_cmp_gt_i32_e32 vcc, 31, v9
	v_cvt_f32_f16_e32 v13, v13
	v_cndmask_b32_e32 v1, v6, v1, vcc
	v_cmp_ne_u32_e32 vcc, 0, v0
	v_cndmask_b32_e64 v0, 0, 1, vcc
	v_lshl_or_b32 v0, v0, 9, v6
	v_cmp_eq_u32_e32 vcc, s16, v9
	v_cndmask_b32_e32 v9, v1, v0, vcc
	v_cvt_f64_f32_e32 v[0:1], v13
	v_lshrrev_b32_e32 v10, 16, v10
	v_and_or_b32 v9, v10, s10, v9
	v_and_b32_e32 v4, 0xffff, v4
	v_mul_f64 v[0:1], v[0:1], s[14:15]
	v_lshl_or_b32 v4, v9, 16, v4
	v_mov_b32_e32 v9, s2
	v_add_co_u32_e32 v2, vcc, s3, v2
	v_addc_co_u32_e32 v3, vcc, v3, v9, vcc
	global_store_dword v[2:3], v4, off
	v_and_or_b32 v0, v1, s18, v0
	v_cmp_ne_u32_e32 vcc, 0, v0
	v_cndmask_b32_e64 v0, 0, 1, vcc
	v_lshrrev_b32_e32 v4, 8, v1
	v_bfe_u32 v9, v1, 20, 11
	v_and_or_b32 v0, v4, s17, v0
	v_sub_u32_e32 v10, 0x3f1, v9
	v_or_b32_e32 v4, 0x1000, v0
	v_med3_i32 v10, v10, 0, 13
	v_lshrrev_b32_e32 v13, v10, v4
	v_lshlrev_b32_e32 v10, v10, v13
	v_mul_f16_sdwa v5, v5, v14 dst_sel:DWORD dst_unused:UNUSED_PAD src0_sel:DWORD src1_sel:WORD_1
	v_cmp_ne_u32_e32 vcc, v10, v4
	v_fma_f16 v5, v14, v11, -v5
	v_cndmask_b32_e64 v4, 0, 1, vcc
	v_add_u32_e32 v9, 0xfffffc10, v9
	v_cvt_f32_f16_e32 v5, v5
	v_or_b32_e32 v4, v13, v4
	v_lshl_or_b32 v10, v9, 12, v0
	v_cmp_gt_i32_e32 vcc, 1, v9
	v_cndmask_b32_e32 v4, v10, v4, vcc
	v_and_b32_e32 v10, 7, v4
	v_cmp_lt_i32_e32 vcc, 5, v10
	v_cmp_eq_u32_e64 s[0:1], 3, v10
	v_lshrrev_b32_e32 v10, 2, v4
	v_cvt_f64_f32_e32 v[4:5], v5
	s_or_b64 vcc, s[0:1], vcc
	v_addc_co_u32_e32 v10, vcc, 0, v10, vcc
	v_mul_f64 v[4:5], v[4:5], s[14:15]
	v_cmp_gt_i32_e32 vcc, 31, v9
	v_cndmask_b32_e32 v10, v6, v10, vcc
	v_cmp_ne_u32_e32 vcc, 0, v0
	v_cndmask_b32_e64 v0, 0, 1, vcc
	v_lshl_or_b32 v0, v0, 9, v6
	v_cmp_eq_u32_e32 vcc, s16, v9
	v_cndmask_b32_e32 v0, v10, v0, vcc
	v_lshrrev_b32_e32 v1, 16, v1
	v_and_or_b32 v9, v1, s10, v0
	v_and_or_b32 v0, v5, s18, v4
	v_cmp_ne_u32_e32 vcc, 0, v0
	v_cndmask_b32_e64 v0, 0, 1, vcc
	v_lshrrev_b32_e32 v1, 8, v5
	v_and_or_b32 v4, v1, s17, v0
	v_bfe_u32 v1, v5, 20, 11
	v_sub_u32_e32 v10, 0x3f1, v1
	v_or_b32_e32 v0, 0x1000, v4
	v_med3_i32 v10, v10, 0, 13
	v_lshrrev_b32_e32 v11, v10, v0
	v_lshlrev_b32_e32 v10, v10, v11
	v_cmp_ne_u32_e32 vcc, v10, v0
	v_cndmask_b32_e64 v0, 0, 1, vcc
	v_add_u32_e32 v10, 0xfffffc10, v1
	v_or_b32_e32 v0, v11, v0
	v_lshl_or_b32 v1, v10, 12, v4
	v_cmp_gt_i32_e32 vcc, 1, v10
	v_cndmask_b32_e32 v0, v1, v0, vcc
	v_and_b32_e32 v1, 7, v0
	v_cmp_lt_i32_e32 vcc, 5, v1
	v_cmp_eq_u32_e64 s[0:1], 3, v1
	v_lshrrev_b32_e32 v0, 2, v0
	s_or_b64 vcc, s[0:1], vcc
	v_addc_co_u32_e32 v11, vcc, 0, v0, vcc
	v_cmp_gt_i32_e32 vcc, 31, v10
	v_cndmask_b32_e32 v11, v6, v11, vcc
	v_cmp_ne_u32_e32 vcc, 0, v4
	v_cndmask_b32_e64 v4, 0, 1, vcc
	v_lshl_or_b32 v4, v4, 9, v6
	v_cmp_eq_u32_e32 vcc, s16, v10
	v_cndmask_b32_e32 v10, v11, v4, vcc
	v_lshrrev_b32_e32 v11, 16, v5
	v_and_or_b32 v10, v11, s10, v10
	global_load_dword v11, v33, s[6:7] offset:1440
	ds_read2_b32 v[0:1], v12 offset0:44 offset1:104
	v_and_b32_e32 v9, 0xffff, v9
	v_lshl_or_b32 v9, v10, 16, v9
	v_mov_b32_e32 v10, s2
	v_add_co_u32_e32 v2, vcc, s3, v2
	s_waitcnt lgkmcnt(0)
	v_lshrrev_b32_e32 v12, 16, v0
	s_waitcnt vmcnt(5)
	v_mul_f16_sdwa v13, v12, v15 dst_sel:DWORD dst_unused:UNUSED_PAD src0_sel:DWORD src1_sel:WORD_1
	v_fma_f16 v13, v0, v15, v13
	v_cvt_f32_f16_e32 v13, v13
	v_addc_co_u32_e32 v3, vcc, v3, v10, vcc
	global_store_dword v[2:3], v9, off
	v_cvt_f64_f32_e32 v[4:5], v13
	v_mul_f16_sdwa v0, v0, v15 dst_sel:DWORD dst_unused:UNUSED_PAD src0_sel:DWORD src1_sel:WORD_1
	v_fma_f16 v0, v15, v12, -v0
	v_cvt_f32_f16_e32 v0, v0
	v_mul_f64 v[4:5], v[4:5], s[14:15]
	v_and_or_b32 v4, v5, s18, v4
	v_cmp_ne_u32_e32 vcc, 0, v4
	v_cndmask_b32_e64 v4, 0, 1, vcc
	v_lshrrev_b32_e32 v9, 8, v5
	v_bfe_u32 v10, v5, 20, 11
	v_and_or_b32 v4, v9, s17, v4
	v_sub_u32_e32 v13, 0x3f1, v10
	v_or_b32_e32 v9, 0x1000, v4
	v_med3_i32 v13, v13, 0, 13
	v_lshrrev_b32_e32 v14, v13, v9
	v_lshlrev_b32_e32 v13, v13, v14
	v_cmp_ne_u32_e32 vcc, v13, v9
	v_cndmask_b32_e64 v9, 0, 1, vcc
	v_add_u32_e32 v13, 0xfffffc10, v10
	v_or_b32_e32 v9, v14, v9
	v_lshl_or_b32 v10, v13, 12, v4
	v_cmp_gt_i32_e32 vcc, 1, v13
	v_cndmask_b32_e32 v9, v10, v9, vcc
	v_and_b32_e32 v10, 7, v9
	v_cmp_lt_i32_e32 vcc, 5, v10
	v_cmp_eq_u32_e64 s[0:1], 3, v10
	v_lshrrev_b32_e32 v12, 2, v9
	v_cvt_f64_f32_e32 v[9:10], v0
	s_or_b64 vcc, s[0:1], vcc
	v_addc_co_u32_e32 v0, vcc, 0, v12, vcc
	v_mul_f64 v[9:10], v[9:10], s[14:15]
	v_cmp_gt_i32_e32 vcc, 31, v13
	v_cndmask_b32_e32 v0, v6, v0, vcc
	v_cmp_ne_u32_e32 vcc, 0, v4
	v_cndmask_b32_e64 v4, 0, 1, vcc
	v_lshl_or_b32 v4, v4, 9, v6
	v_cmp_eq_u32_e32 vcc, s16, v13
	v_cndmask_b32_e32 v0, v0, v4, vcc
	v_lshrrev_b32_e32 v4, 16, v5
	v_and_or_b32 v0, v4, s10, v0
	v_and_or_b32 v4, v10, s18, v9
	v_cmp_ne_u32_e32 vcc, 0, v4
	v_cndmask_b32_e64 v4, 0, 1, vcc
	v_lshrrev_b32_e32 v5, 8, v10
	v_bfe_u32 v9, v10, 20, 11
	v_and_or_b32 v4, v5, s17, v4
	v_sub_u32_e32 v12, 0x3f1, v9
	v_or_b32_e32 v5, 0x1000, v4
	v_med3_i32 v12, v12, 0, 13
	v_lshrrev_b32_e32 v13, v12, v5
	v_lshlrev_b32_e32 v12, v12, v13
	v_cmp_ne_u32_e32 vcc, v12, v5
	v_cndmask_b32_e64 v5, 0, 1, vcc
	v_or_b32_e32 v5, v13, v5
	global_load_dword v13, v33, s[6:7] offset:1680
	global_load_dword v14, v33, s[6:7] offset:1920
	;; [unrolled: 1-line block ×5, first 2 shown]
	v_add_u32_e32 v9, 0xfffffc10, v9
	v_lshl_or_b32 v12, v9, 12, v4
	v_cmp_gt_i32_e32 vcc, 1, v9
	v_cndmask_b32_e32 v5, v12, v5, vcc
	v_and_b32_e32 v12, 7, v5
	v_cmp_lt_i32_e32 vcc, 5, v12
	v_cmp_eq_u32_e64 s[0:1], 3, v12
	v_lshrrev_b32_e32 v12, 16, v1
	v_lshrrev_b32_e32 v5, 2, v5
	s_or_b64 vcc, s[0:1], vcc
	s_waitcnt vmcnt(6)
	v_mul_f16_sdwa v18, v12, v11 dst_sel:DWORD dst_unused:UNUSED_PAD src0_sel:DWORD src1_sel:WORD_1
	v_addc_co_u32_e32 v5, vcc, 0, v5, vcc
	v_fma_f16 v18, v1, v11, v18
	v_cmp_gt_i32_e32 vcc, 31, v9
	v_cvt_f32_f16_e32 v18, v18
	v_cndmask_b32_e32 v5, v6, v5, vcc
	v_cmp_ne_u32_e32 vcc, 0, v4
	v_cndmask_b32_e64 v4, 0, 1, vcc
	v_lshl_or_b32 v4, v4, 9, v6
	v_cmp_eq_u32_e32 vcc, s16, v9
	v_cndmask_b32_e32 v9, v5, v4, vcc
	v_cvt_f64_f32_e32 v[4:5], v18
	v_lshrrev_b32_e32 v10, 16, v10
	v_and_or_b32 v9, v10, s10, v9
	v_and_b32_e32 v0, 0xffff, v0
	v_mul_f64 v[4:5], v[4:5], s[14:15]
	v_lshl_or_b32 v0, v9, 16, v0
	v_mov_b32_e32 v9, s2
	v_add_co_u32_e32 v2, vcc, s3, v2
	v_addc_co_u32_e32 v3, vcc, v3, v9, vcc
	global_store_dword v[2:3], v0, off
	v_and_or_b32 v0, v5, s18, v4
	v_cmp_ne_u32_e32 vcc, 0, v0
	v_cndmask_b32_e64 v0, 0, 1, vcc
	v_lshrrev_b32_e32 v4, 8, v5
	v_bfe_u32 v9, v5, 20, 11
	v_and_or_b32 v4, v4, s17, v0
	v_sub_u32_e32 v10, 0x3f1, v9
	v_or_b32_e32 v0, 0x1000, v4
	v_med3_i32 v10, v10, 0, 13
	v_lshrrev_b32_e32 v18, v10, v0
	v_lshlrev_b32_e32 v10, v10, v18
	v_mul_f16_sdwa v1, v1, v11 dst_sel:DWORD dst_unused:UNUSED_PAD src0_sel:DWORD src1_sel:WORD_1
	v_cmp_ne_u32_e32 vcc, v10, v0
	v_fma_f16 v1, v11, v12, -v1
	v_cndmask_b32_e64 v0, 0, 1, vcc
	v_add_u32_e32 v9, 0xfffffc10, v9
	v_cvt_f32_f16_e32 v1, v1
	v_or_b32_e32 v0, v18, v0
	v_lshl_or_b32 v10, v9, 12, v4
	v_cmp_gt_i32_e32 vcc, 1, v9
	v_cndmask_b32_e32 v0, v10, v0, vcc
	v_and_b32_e32 v10, 7, v0
	v_cmp_lt_i32_e32 vcc, 5, v10
	v_cmp_eq_u32_e64 s[0:1], 3, v10
	v_lshrrev_b32_e32 v10, 2, v0
	v_cvt_f64_f32_e32 v[0:1], v1
	s_or_b64 vcc, s[0:1], vcc
	v_addc_co_u32_e32 v10, vcc, 0, v10, vcc
	v_mul_f64 v[0:1], v[0:1], s[14:15]
	v_cmp_gt_i32_e32 vcc, 31, v9
	v_cndmask_b32_e32 v10, v6, v10, vcc
	v_cmp_ne_u32_e32 vcc, 0, v4
	v_cndmask_b32_e64 v4, 0, 1, vcc
	v_lshl_or_b32 v4, v4, 9, v6
	v_cmp_eq_u32_e32 vcc, s16, v9
	v_cndmask_b32_e32 v4, v10, v4, vcc
	v_and_or_b32 v0, v1, s18, v0
	v_lshrrev_b32_e32 v5, 16, v5
	v_cmp_ne_u32_e32 vcc, 0, v0
	v_and_or_b32 v11, v5, s10, v4
	v_cndmask_b32_e64 v0, 0, 1, vcc
	v_lshrrev_b32_e32 v4, 8, v1
	v_bfe_u32 v5, v1, 20, 11
	v_and_or_b32 v0, v4, s17, v0
	v_sub_u32_e32 v9, 0x3f1, v5
	v_or_b32_e32 v4, 0x1000, v0
	v_med3_i32 v9, v9, 0, 13
	v_lshrrev_b32_e32 v10, v9, v4
	v_lshlrev_b32_e32 v9, v9, v10
	v_cmp_ne_u32_e32 vcc, v9, v4
	v_cndmask_b32_e64 v4, 0, 1, vcc
	v_add_u32_e32 v9, 0xfffffc10, v5
	v_or_b32_e32 v4, v10, v4
	v_lshl_or_b32 v5, v9, 12, v0
	v_cmp_gt_i32_e32 vcc, 1, v9
	v_cndmask_b32_e32 v4, v5, v4, vcc
	v_and_b32_e32 v5, 7, v4
	v_cmp_lt_i32_e32 vcc, 5, v5
	v_cmp_eq_u32_e64 s[0:1], 3, v5
	v_lshrrev_b32_e32 v4, 2, v4
	s_or_b64 vcc, s[0:1], vcc
	v_addc_co_u32_e32 v10, vcc, 0, v4, vcc
	v_add_u32_e32 v4, 0x600, v33
	ds_read2_b32 v[4:5], v4 offset0:36 offset1:156
	v_cmp_gt_i32_e32 vcc, 31, v9
	v_cndmask_b32_e32 v10, v6, v10, vcc
	v_cmp_ne_u32_e32 vcc, 0, v0
	v_cndmask_b32_e64 v0, 0, 1, vcc
	s_waitcnt lgkmcnt(0)
	v_lshrrev_b32_e32 v12, 16, v4
	s_waitcnt vmcnt(5)
	v_mul_f16_sdwa v18, v12, v13 dst_sel:DWORD dst_unused:UNUSED_PAD src0_sel:DWORD src1_sel:WORD_1
	v_fma_f16 v18, v4, v13, v18
	v_cvt_f32_f16_e32 v18, v18
	v_lshl_or_b32 v0, v0, 9, v6
	v_cmp_eq_u32_e32 vcc, s16, v9
	v_cndmask_b32_e32 v0, v10, v0, vcc
	v_cvt_f64_f32_e32 v[9:10], v18
	v_lshrrev_b32_e32 v1, 16, v1
	v_and_or_b32 v18, v1, s10, v0
	v_add_co_u32_e32 v2, vcc, s3, v2
	v_mul_f64 v[0:1], v[9:10], s[14:15]
	v_mov_b32_e32 v10, s2
	v_and_b32_e32 v11, 0xffff, v11
	v_addc_co_u32_e32 v3, vcc, v3, v10, vcc
	v_lshl_or_b32 v9, v18, 16, v11
	global_store_dword v[2:3], v9, off
	v_mul_f16_sdwa v4, v4, v13 dst_sel:DWORD dst_unused:UNUSED_PAD src0_sel:DWORD src1_sel:WORD_1
	v_and_or_b32 v0, v1, s18, v0
	v_cmp_ne_u32_e32 vcc, 0, v0
	v_cndmask_b32_e64 v0, 0, 1, vcc
	v_lshrrev_b32_e32 v9, 8, v1
	v_bfe_u32 v10, v1, 20, 11
	v_and_or_b32 v0, v9, s17, v0
	v_sub_u32_e32 v11, 0x3f1, v10
	v_or_b32_e32 v9, 0x1000, v0
	v_med3_i32 v11, v11, 0, 13
	v_lshrrev_b32_e32 v18, v11, v9
	v_lshlrev_b32_e32 v11, v11, v18
	v_cmp_ne_u32_e32 vcc, v11, v9
	v_fma_f16 v4, v13, v12, -v4
	v_cndmask_b32_e64 v9, 0, 1, vcc
	v_add_u32_e32 v11, 0xfffffc10, v10
	v_cvt_f32_f16_e32 v4, v4
	v_or_b32_e32 v9, v18, v9
	v_lshl_or_b32 v10, v11, 12, v0
	v_cmp_gt_i32_e32 vcc, 1, v11
	v_cndmask_b32_e32 v9, v10, v9, vcc
	v_and_b32_e32 v10, 7, v9
	v_cmp_lt_i32_e32 vcc, 5, v10
	v_cmp_eq_u32_e64 s[0:1], 3, v10
	v_lshrrev_b32_e32 v12, 2, v9
	v_cvt_f64_f32_e32 v[9:10], v4
	s_or_b64 vcc, s[0:1], vcc
	v_addc_co_u32_e32 v4, vcc, 0, v12, vcc
	v_mul_f64 v[9:10], v[9:10], s[14:15]
	v_cmp_gt_i32_e32 vcc, 31, v11
	v_cndmask_b32_e32 v4, v6, v4, vcc
	v_cmp_ne_u32_e32 vcc, 0, v0
	v_cndmask_b32_e64 v0, 0, 1, vcc
	v_lshl_or_b32 v0, v0, 9, v6
	v_cmp_eq_u32_e32 vcc, s16, v11
	v_cndmask_b32_e32 v0, v4, v0, vcc
	v_lshrrev_b32_e32 v1, 16, v1
	v_and_or_b32 v4, v1, s10, v0
	v_and_or_b32 v0, v10, s18, v9
	v_cmp_ne_u32_e32 vcc, 0, v0
	v_cndmask_b32_e64 v0, 0, 1, vcc
	v_lshrrev_b32_e32 v1, 8, v10
	v_bfe_u32 v9, v10, 20, 11
	v_and_or_b32 v0, v1, s17, v0
	v_sub_u32_e32 v11, 0x3f1, v9
	v_or_b32_e32 v1, 0x1000, v0
	v_med3_i32 v11, v11, 0, 13
	v_lshrrev_b32_e32 v12, v11, v1
	v_lshlrev_b32_e32 v11, v11, v12
	v_cmp_ne_u32_e32 vcc, v11, v1
	v_cndmask_b32_e64 v1, 0, 1, vcc
	v_add_u32_e32 v9, 0xfffffc10, v9
	v_or_b32_e32 v1, v12, v1
	v_lshl_or_b32 v11, v9, 12, v0
	v_cmp_gt_i32_e32 vcc, 1, v9
	v_cndmask_b32_e32 v1, v11, v1, vcc
	v_and_b32_e32 v11, 7, v1
	v_cmp_lt_i32_e32 vcc, 5, v11
	v_cmp_eq_u32_e64 s[0:1], 3, v11
	v_lshrrev_b32_e32 v11, 16, v8
	v_lshrrev_b32_e32 v1, 2, v1
	s_or_b64 vcc, s[0:1], vcc
	s_waitcnt vmcnt(5)
	v_mul_f16_sdwa v12, v11, v14 dst_sel:DWORD dst_unused:UNUSED_PAD src0_sel:DWORD src1_sel:WORD_1
	v_addc_co_u32_e32 v1, vcc, 0, v1, vcc
	v_fma_f16 v12, v8, v14, v12
	v_cmp_gt_i32_e32 vcc, 31, v9
	v_cvt_f32_f16_e32 v12, v12
	v_cndmask_b32_e32 v1, v6, v1, vcc
	v_cmp_ne_u32_e32 vcc, 0, v0
	v_cndmask_b32_e64 v0, 0, 1, vcc
	v_lshl_or_b32 v0, v0, 9, v6
	v_cmp_eq_u32_e32 vcc, s16, v9
	v_cndmask_b32_e32 v9, v1, v0, vcc
	v_cvt_f64_f32_e32 v[0:1], v12
	v_lshrrev_b32_e32 v10, 16, v10
	v_and_or_b32 v9, v10, s10, v9
	v_and_b32_e32 v4, 0xffff, v4
	v_mul_f64 v[0:1], v[0:1], s[14:15]
	v_lshl_or_b32 v4, v9, 16, v4
	v_mov_b32_e32 v9, s2
	v_add_co_u32_e32 v2, vcc, s3, v2
	v_addc_co_u32_e32 v3, vcc, v3, v9, vcc
	global_store_dword v[2:3], v4, off
	v_and_or_b32 v0, v1, s18, v0
	v_cmp_ne_u32_e32 vcc, 0, v0
	v_cndmask_b32_e64 v0, 0, 1, vcc
	v_lshrrev_b32_e32 v4, 8, v1
	v_bfe_u32 v9, v1, 20, 11
	v_and_or_b32 v0, v4, s17, v0
	v_sub_u32_e32 v10, 0x3f1, v9
	v_or_b32_e32 v4, 0x1000, v0
	v_med3_i32 v10, v10, 0, 13
	v_lshrrev_b32_e32 v12, v10, v4
	v_lshlrev_b32_e32 v10, v10, v12
	v_mul_f16_sdwa v8, v8, v14 dst_sel:DWORD dst_unused:UNUSED_PAD src0_sel:DWORD src1_sel:WORD_1
	v_cmp_ne_u32_e32 vcc, v10, v4
	v_fma_f16 v8, v14, v11, -v8
	v_cndmask_b32_e64 v4, 0, 1, vcc
	v_add_u32_e32 v10, 0xfffffc10, v9
	v_cvt_f32_f16_e32 v8, v8
	v_or_b32_e32 v4, v12, v4
	v_lshl_or_b32 v9, v10, 12, v0
	v_cmp_gt_i32_e32 vcc, 1, v10
	v_cndmask_b32_e32 v4, v9, v4, vcc
	v_and_b32_e32 v9, 7, v4
	v_cmp_lt_i32_e32 vcc, 5, v9
	v_cmp_eq_u32_e64 s[0:1], 3, v9
	v_cvt_f64_f32_e32 v[8:9], v8
	v_lshrrev_b32_e32 v4, 2, v4
	s_or_b64 vcc, s[0:1], vcc
	v_addc_co_u32_e32 v4, vcc, 0, v4, vcc
	v_mul_f64 v[8:9], v[8:9], s[14:15]
	v_cmp_gt_i32_e32 vcc, 31, v10
	v_cndmask_b32_e32 v4, v6, v4, vcc
	v_cmp_ne_u32_e32 vcc, 0, v0
	v_cndmask_b32_e64 v0, 0, 1, vcc
	v_lshl_or_b32 v0, v0, 9, v6
	v_cmp_eq_u32_e32 vcc, s16, v10
	v_cndmask_b32_e32 v0, v4, v0, vcc
	v_lshrrev_b32_e32 v1, 16, v1
	v_and_or_b32 v4, v1, s10, v0
	v_and_or_b32 v0, v9, s18, v8
	v_cmp_ne_u32_e32 vcc, 0, v0
	v_cndmask_b32_e64 v0, 0, 1, vcc
	v_lshrrev_b32_e32 v1, 8, v9
	v_bfe_u32 v8, v9, 20, 11
	v_and_or_b32 v0, v1, s17, v0
	v_sub_u32_e32 v10, 0x3f1, v8
	v_or_b32_e32 v1, 0x1000, v0
	v_med3_i32 v10, v10, 0, 13
	v_lshrrev_b32_e32 v11, v10, v1
	v_lshlrev_b32_e32 v10, v10, v11
	v_cmp_ne_u32_e32 vcc, v10, v1
	v_cndmask_b32_e64 v1, 0, 1, vcc
	v_add_u32_e32 v8, 0xfffffc10, v8
	v_or_b32_e32 v1, v11, v1
	v_lshl_or_b32 v10, v8, 12, v0
	v_cmp_gt_i32_e32 vcc, 1, v8
	v_cndmask_b32_e32 v1, v10, v1, vcc
	v_and_b32_e32 v10, 7, v1
	v_cmp_lt_i32_e32 vcc, 5, v10
	v_cmp_eq_u32_e64 s[0:1], 3, v10
	v_lshrrev_b32_e32 v10, 16, v5
	v_lshrrev_b32_e32 v1, 2, v1
	s_or_b64 vcc, s[0:1], vcc
	s_waitcnt vmcnt(5)
	v_mul_f16_sdwa v11, v10, v15 dst_sel:DWORD dst_unused:UNUSED_PAD src0_sel:DWORD src1_sel:WORD_1
	v_addc_co_u32_e32 v1, vcc, 0, v1, vcc
	v_fma_f16 v11, v5, v15, v11
	v_cmp_gt_i32_e32 vcc, 31, v8
	v_cvt_f32_f16_e32 v11, v11
	v_cndmask_b32_e32 v1, v6, v1, vcc
	v_cmp_ne_u32_e32 vcc, 0, v0
	v_cndmask_b32_e64 v0, 0, 1, vcc
	v_lshl_or_b32 v0, v0, 9, v6
	v_cmp_eq_u32_e32 vcc, s16, v8
	v_cndmask_b32_e32 v8, v1, v0, vcc
	v_cvt_f64_f32_e32 v[0:1], v11
	v_lshrrev_b32_e32 v9, 16, v9
	v_and_or_b32 v8, v9, s10, v8
	v_and_b32_e32 v4, 0xffff, v4
	v_mul_f64 v[0:1], v[0:1], s[14:15]
	v_lshl_or_b32 v4, v8, 16, v4
	v_mov_b32_e32 v8, s2
	v_add_co_u32_e32 v2, vcc, s3, v2
	v_addc_co_u32_e32 v3, vcc, v3, v8, vcc
	global_store_dword v[2:3], v4, off
	v_and_or_b32 v0, v1, s18, v0
	v_cmp_ne_u32_e32 vcc, 0, v0
	v_cndmask_b32_e64 v0, 0, 1, vcc
	v_lshrrev_b32_e32 v4, 8, v1
	v_bfe_u32 v8, v1, 20, 11
	v_and_or_b32 v0, v4, s17, v0
	v_sub_u32_e32 v9, 0x3f1, v8
	v_or_b32_e32 v4, 0x1000, v0
	v_med3_i32 v9, v9, 0, 13
	v_lshrrev_b32_e32 v11, v9, v4
	v_lshlrev_b32_e32 v9, v9, v11
	v_mul_f16_sdwa v5, v5, v15 dst_sel:DWORD dst_unused:UNUSED_PAD src0_sel:DWORD src1_sel:WORD_1
	v_cmp_ne_u32_e32 vcc, v9, v4
	v_fma_f16 v5, v15, v10, -v5
	v_cndmask_b32_e64 v4, 0, 1, vcc
	v_add_u32_e32 v8, 0xfffffc10, v8
	v_cvt_f32_f16_e32 v5, v5
	v_or_b32_e32 v4, v11, v4
	v_lshl_or_b32 v9, v8, 12, v0
	v_cmp_gt_i32_e32 vcc, 1, v8
	v_cndmask_b32_e32 v4, v9, v4, vcc
	v_and_b32_e32 v9, 7, v4
	v_cmp_lt_i32_e32 vcc, 5, v9
	v_cmp_eq_u32_e64 s[0:1], 3, v9
	v_lshrrev_b32_e32 v9, 2, v4
	v_cvt_f64_f32_e32 v[4:5], v5
	s_or_b64 vcc, s[0:1], vcc
	v_addc_co_u32_e32 v9, vcc, 0, v9, vcc
	v_mul_f64 v[4:5], v[4:5], s[14:15]
	v_cmp_gt_i32_e32 vcc, 31, v8
	v_cndmask_b32_e32 v9, v6, v9, vcc
	v_cmp_ne_u32_e32 vcc, 0, v0
	v_cndmask_b32_e64 v0, 0, 1, vcc
	v_lshl_or_b32 v0, v0, 9, v6
	v_cmp_eq_u32_e32 vcc, s16, v8
	v_cndmask_b32_e32 v0, v9, v0, vcc
	v_lshrrev_b32_e32 v1, 16, v1
	v_and_or_b32 v10, v1, s10, v0
	v_and_or_b32 v0, v5, s18, v4
	v_cmp_ne_u32_e32 vcc, 0, v0
	v_cndmask_b32_e64 v0, 0, 1, vcc
	v_lshrrev_b32_e32 v1, 8, v5
	v_and_or_b32 v4, v1, s17, v0
	v_bfe_u32 v1, v5, 20, 11
	v_sub_u32_e32 v8, 0x3f1, v1
	v_or_b32_e32 v0, 0x1000, v4
	v_med3_i32 v8, v8, 0, 13
	v_lshrrev_b32_e32 v9, v8, v0
	v_lshlrev_b32_e32 v8, v8, v9
	v_cmp_ne_u32_e32 vcc, v8, v0
	v_cndmask_b32_e64 v0, 0, 1, vcc
	v_add_u32_e32 v8, 0xfffffc10, v1
	v_or_b32_e32 v0, v9, v0
	v_lshl_or_b32 v1, v8, 12, v4
	v_cmp_gt_i32_e32 vcc, 1, v8
	v_cndmask_b32_e32 v0, v1, v0, vcc
	v_and_b32_e32 v1, 7, v0
	v_cmp_lt_i32_e32 vcc, 5, v1
	v_cmp_eq_u32_e64 s[0:1], 3, v1
	v_lshrrev_b32_e32 v0, 2, v0
	s_or_b64 vcc, s[0:1], vcc
	v_addc_co_u32_e32 v9, vcc, 0, v0, vcc
	v_add_u32_e32 v0, 0x800, v33
	ds_read2_b32 v[0:1], v0 offset0:88 offset1:148
	v_cmp_gt_i32_e32 vcc, 31, v8
	v_cndmask_b32_e32 v9, v6, v9, vcc
	v_cmp_ne_u32_e32 vcc, 0, v4
	v_cndmask_b32_e64 v4, 0, 1, vcc
	s_waitcnt lgkmcnt(0)
	v_lshrrev_b32_e32 v11, 16, v0
	s_waitcnt vmcnt(5)
	v_mul_f16_sdwa v12, v11, v16 dst_sel:DWORD dst_unused:UNUSED_PAD src0_sel:DWORD src1_sel:WORD_1
	v_fma_f16 v12, v0, v16, v12
	v_cvt_f32_f16_e32 v12, v12
	v_lshl_or_b32 v4, v4, 9, v6
	v_cmp_eq_u32_e32 vcc, s16, v8
	v_cndmask_b32_e32 v4, v9, v4, vcc
	v_cvt_f64_f32_e32 v[8:9], v12
	v_lshrrev_b32_e32 v5, 16, v5
	v_and_or_b32 v12, v5, s10, v4
	v_add_co_u32_e32 v2, vcc, s3, v2
	v_mul_f64 v[4:5], v[8:9], s[14:15]
	v_mov_b32_e32 v9, s2
	v_and_b32_e32 v10, 0xffff, v10
	v_addc_co_u32_e32 v3, vcc, v3, v9, vcc
	v_lshl_or_b32 v8, v12, 16, v10
	global_store_dword v[2:3], v8, off
	v_mul_f16_sdwa v0, v0, v16 dst_sel:DWORD dst_unused:UNUSED_PAD src0_sel:DWORD src1_sel:WORD_1
	v_and_or_b32 v4, v5, s18, v4
	v_cmp_ne_u32_e32 vcc, 0, v4
	v_cndmask_b32_e64 v4, 0, 1, vcc
	v_lshrrev_b32_e32 v8, 8, v5
	v_bfe_u32 v9, v5, 20, 11
	v_and_or_b32 v4, v8, s17, v4
	v_sub_u32_e32 v10, 0x3f1, v9
	v_or_b32_e32 v8, 0x1000, v4
	v_med3_i32 v10, v10, 0, 13
	v_lshrrev_b32_e32 v12, v10, v8
	v_lshlrev_b32_e32 v10, v10, v12
	v_cmp_ne_u32_e32 vcc, v10, v8
	v_fma_f16 v0, v16, v11, -v0
	v_cndmask_b32_e64 v8, 0, 1, vcc
	v_add_u32_e32 v10, 0xfffffc10, v9
	v_cvt_f32_f16_e32 v0, v0
	v_or_b32_e32 v8, v12, v8
	v_lshl_or_b32 v9, v10, 12, v4
	v_cmp_gt_i32_e32 vcc, 1, v10
	v_cndmask_b32_e32 v8, v9, v8, vcc
	v_and_b32_e32 v9, 7, v8
	v_cmp_lt_i32_e32 vcc, 5, v9
	v_cmp_eq_u32_e64 s[0:1], 3, v9
	v_lshrrev_b32_e32 v11, 2, v8
	v_cvt_f64_f32_e32 v[8:9], v0
	s_or_b64 vcc, s[0:1], vcc
	v_addc_co_u32_e32 v0, vcc, 0, v11, vcc
	v_mul_f64 v[8:9], v[8:9], s[14:15]
	v_cmp_gt_i32_e32 vcc, 31, v10
	v_cndmask_b32_e32 v0, v6, v0, vcc
	v_cmp_ne_u32_e32 vcc, 0, v4
	v_cndmask_b32_e64 v4, 0, 1, vcc
	v_lshl_or_b32 v4, v4, 9, v6
	v_cmp_eq_u32_e32 vcc, s16, v10
	v_cndmask_b32_e32 v0, v0, v4, vcc
	v_lshrrev_b32_e32 v4, 16, v5
	v_and_or_b32 v0, v4, s10, v0
	v_and_or_b32 v4, v9, s18, v8
	v_cmp_ne_u32_e32 vcc, 0, v4
	v_cndmask_b32_e64 v4, 0, 1, vcc
	v_lshrrev_b32_e32 v5, 8, v9
	v_bfe_u32 v8, v9, 20, 11
	v_and_or_b32 v4, v5, s17, v4
	v_sub_u32_e32 v10, 0x3f1, v8
	v_or_b32_e32 v5, 0x1000, v4
	v_med3_i32 v10, v10, 0, 13
	v_lshrrev_b32_e32 v11, v10, v5
	v_lshlrev_b32_e32 v10, v10, v11
	v_cmp_ne_u32_e32 vcc, v10, v5
	v_cndmask_b32_e64 v5, 0, 1, vcc
	v_add_u32_e32 v8, 0xfffffc10, v8
	v_or_b32_e32 v5, v11, v5
	v_lshl_or_b32 v10, v8, 12, v4
	v_cmp_gt_i32_e32 vcc, 1, v8
	v_cndmask_b32_e32 v5, v10, v5, vcc
	v_and_b32_e32 v10, 7, v5
	v_cmp_lt_i32_e32 vcc, 5, v10
	v_cmp_eq_u32_e64 s[0:1], 3, v10
	v_lshrrev_b32_e32 v10, 16, v1
	v_lshrrev_b32_e32 v5, 2, v5
	s_or_b64 vcc, s[0:1], vcc
	s_waitcnt vmcnt(5)
	v_mul_f16_sdwa v11, v10, v17 dst_sel:DWORD dst_unused:UNUSED_PAD src0_sel:DWORD src1_sel:WORD_1
	v_addc_co_u32_e32 v5, vcc, 0, v5, vcc
	v_fma_f16 v11, v1, v17, v11
	v_cmp_gt_i32_e32 vcc, 31, v8
	v_cvt_f32_f16_e32 v11, v11
	v_cndmask_b32_e32 v5, v6, v5, vcc
	v_cmp_ne_u32_e32 vcc, 0, v4
	v_cndmask_b32_e64 v4, 0, 1, vcc
	v_lshl_or_b32 v4, v4, 9, v6
	v_cmp_eq_u32_e32 vcc, s16, v8
	v_cndmask_b32_e32 v8, v5, v4, vcc
	v_cvt_f64_f32_e32 v[4:5], v11
	v_lshrrev_b32_e32 v9, 16, v9
	v_and_or_b32 v8, v9, s10, v8
	v_and_b32_e32 v0, 0xffff, v0
	v_mul_f64 v[4:5], v[4:5], s[14:15]
	v_lshl_or_b32 v0, v8, 16, v0
	v_mov_b32_e32 v8, s2
	v_add_co_u32_e32 v2, vcc, s3, v2
	v_addc_co_u32_e32 v3, vcc, v3, v8, vcc
	global_store_dword v[2:3], v0, off
	v_and_or_b32 v0, v5, s18, v4
	v_cmp_ne_u32_e32 vcc, 0, v0
	v_cndmask_b32_e64 v0, 0, 1, vcc
	v_lshrrev_b32_e32 v4, 8, v5
	v_bfe_u32 v8, v5, 20, 11
	v_and_or_b32 v4, v4, s17, v0
	v_sub_u32_e32 v9, 0x3f1, v8
	v_or_b32_e32 v0, 0x1000, v4
	v_med3_i32 v9, v9, 0, 13
	v_lshrrev_b32_e32 v11, v9, v0
	v_lshlrev_b32_e32 v9, v9, v11
	v_mul_f16_sdwa v1, v1, v17 dst_sel:DWORD dst_unused:UNUSED_PAD src0_sel:DWORD src1_sel:WORD_1
	v_cmp_ne_u32_e32 vcc, v9, v0
	v_fma_f16 v1, v17, v10, -v1
	v_cndmask_b32_e64 v0, 0, 1, vcc
	v_add_u32_e32 v8, 0xfffffc10, v8
	v_cvt_f32_f16_e32 v1, v1
	v_or_b32_e32 v0, v11, v0
	v_lshl_or_b32 v9, v8, 12, v4
	v_cmp_gt_i32_e32 vcc, 1, v8
	v_cndmask_b32_e32 v0, v9, v0, vcc
	v_and_b32_e32 v9, 7, v0
	v_cmp_lt_i32_e32 vcc, 5, v9
	v_cmp_eq_u32_e64 s[0:1], 3, v9
	v_lshrrev_b32_e32 v9, 2, v0
	v_cvt_f64_f32_e32 v[0:1], v1
	s_or_b64 vcc, s[0:1], vcc
	v_addc_co_u32_e32 v9, vcc, 0, v9, vcc
	v_mul_f64 v[0:1], v[0:1], s[14:15]
	v_cmp_gt_i32_e32 vcc, 31, v8
	v_cndmask_b32_e32 v9, v6, v9, vcc
	v_cmp_ne_u32_e32 vcc, 0, v4
	v_cndmask_b32_e64 v4, 0, 1, vcc
	v_lshl_or_b32 v4, v4, 9, v6
	v_cmp_eq_u32_e32 vcc, s16, v8
	v_cndmask_b32_e32 v4, v9, v4, vcc
	v_and_or_b32 v0, v1, s18, v0
	v_lshrrev_b32_e32 v5, 16, v5
	v_cmp_ne_u32_e32 vcc, 0, v0
	v_and_or_b32 v4, v5, s10, v4
	v_cndmask_b32_e64 v0, 0, 1, vcc
	v_lshrrev_b32_e32 v5, 8, v1
	v_bfe_u32 v8, v1, 20, 11
	v_and_or_b32 v0, v5, s17, v0
	v_sub_u32_e32 v9, 0x3f1, v8
	v_or_b32_e32 v5, 0x1000, v0
	v_med3_i32 v9, v9, 0, 13
	v_lshrrev_b32_e32 v10, v9, v5
	v_lshlrev_b32_e32 v9, v9, v10
	v_cmp_ne_u32_e32 vcc, v9, v5
	v_cndmask_b32_e64 v5, 0, 1, vcc
	v_add_u32_e32 v8, 0xfffffc10, v8
	v_or_b32_e32 v5, v10, v5
	v_lshl_or_b32 v9, v8, 12, v0
	v_cmp_gt_i32_e32 vcc, 1, v8
	v_cndmask_b32_e32 v5, v9, v5, vcc
	v_and_b32_e32 v9, 7, v5
	v_cmp_lt_i32_e32 vcc, 5, v9
	v_cmp_eq_u32_e64 s[0:1], 3, v9
	v_lshrrev_b32_e32 v5, 2, v5
	s_or_b64 vcc, s[0:1], vcc
	v_addc_co_u32_e32 v5, vcc, 0, v5, vcc
	v_cmp_gt_i32_e32 vcc, 31, v8
	v_cndmask_b32_e32 v5, v6, v5, vcc
	v_cmp_ne_u32_e32 vcc, 0, v0
	v_cndmask_b32_e64 v0, 0, 1, vcc
	v_lshl_or_b32 v0, v0, 9, v6
	v_cmp_eq_u32_e32 vcc, s16, v8
	v_cndmask_b32_e32 v0, v5, v0, vcc
	v_lshrrev_b32_e32 v1, 16, v1
	v_and_or_b32 v0, v1, s10, v0
	v_and_b32_e32 v1, 0xffff, v4
	v_lshl_or_b32 v4, v0, 16, v1
	v_mov_b32_e32 v1, s2
	v_add_co_u32_e32 v0, vcc, s3, v2
	v_addc_co_u32_e32 v1, vcc, v3, v1, vcc
	global_store_dword v[0:1], v4, off
	global_load_dword v8, v33, s[6:7] offset:2880
	ds_read2_b32 v[2:3], v7 offset0:80 offset1:140
	s_waitcnt lgkmcnt(0)
	v_lshrrev_b32_e32 v7, 16, v2
	s_waitcnt vmcnt(0)
	v_mul_f16_sdwa v4, v7, v8 dst_sel:DWORD dst_unused:UNUSED_PAD src0_sel:DWORD src1_sel:WORD_1
	v_fma_f16 v4, v2, v8, v4
	v_cvt_f32_f16_e32 v4, v4
	v_mul_f16_sdwa v2, v2, v8 dst_sel:DWORD dst_unused:UNUSED_PAD src0_sel:DWORD src1_sel:WORD_1
	v_fma_f16 v2, v8, v7, -v2
	v_cvt_f32_f16_e32 v2, v2
	v_cvt_f64_f32_e32 v[4:5], v4
	v_cvt_f64_f32_e32 v[7:8], v2
	v_mul_f64 v[4:5], v[4:5], s[14:15]
	v_mul_f64 v[7:8], v[7:8], s[14:15]
	v_and_or_b32 v4, v5, s18, v4
	v_cmp_ne_u32_e32 vcc, 0, v4
	v_cndmask_b32_e64 v4, 0, 1, vcc
	v_lshrrev_b32_e32 v9, 8, v5
	v_bfe_u32 v10, v5, 20, 11
	v_and_or_b32 v4, v9, s17, v4
	v_sub_u32_e32 v11, 0x3f1, v10
	v_or_b32_e32 v9, 0x1000, v4
	v_med3_i32 v11, v11, 0, 13
	v_lshrrev_b32_e32 v12, v11, v9
	v_lshlrev_b32_e32 v11, v11, v12
	v_cmp_ne_u32_e32 vcc, v11, v9
	v_cndmask_b32_e64 v9, 0, 1, vcc
	v_add_u32_e32 v10, 0xfffffc10, v10
	v_or_b32_e32 v9, v12, v9
	v_lshl_or_b32 v11, v10, 12, v4
	v_cmp_gt_i32_e32 vcc, 1, v10
	v_cndmask_b32_e32 v9, v11, v9, vcc
	v_and_b32_e32 v11, 7, v9
	v_cmp_lt_i32_e32 vcc, 5, v11
	v_cmp_eq_u32_e64 s[0:1], 3, v11
	v_lshrrev_b32_e32 v9, 2, v9
	s_or_b64 vcc, s[0:1], vcc
	v_addc_co_u32_e32 v2, vcc, 0, v9, vcc
	v_cmp_gt_i32_e32 vcc, 31, v10
	v_cndmask_b32_e32 v2, v6, v2, vcc
	v_cmp_ne_u32_e32 vcc, 0, v4
	v_cndmask_b32_e64 v4, 0, 1, vcc
	v_lshl_or_b32 v4, v4, 9, v6
	v_cmp_eq_u32_e32 vcc, s16, v10
	v_cndmask_b32_e32 v2, v2, v4, vcc
	v_lshrrev_b32_e32 v4, 16, v5
	v_and_or_b32 v2, v4, s10, v2
	v_and_or_b32 v4, v8, s18, v7
	v_cmp_ne_u32_e32 vcc, 0, v4
	v_cndmask_b32_e64 v4, 0, 1, vcc
	v_lshrrev_b32_e32 v5, 8, v8
	v_bfe_u32 v7, v8, 20, 11
	v_and_or_b32 v4, v5, s17, v4
	v_sub_u32_e32 v9, 0x3f1, v7
	v_or_b32_e32 v5, 0x1000, v4
	v_med3_i32 v9, v9, 0, 13
	v_lshrrev_b32_e32 v10, v9, v5
	v_lshlrev_b32_e32 v9, v9, v10
	v_cmp_ne_u32_e32 vcc, v9, v5
	v_cndmask_b32_e64 v5, 0, 1, vcc
	v_add_u32_e32 v7, 0xfffffc10, v7
	v_or_b32_e32 v5, v10, v5
	v_lshl_or_b32 v9, v7, 12, v4
	v_cmp_gt_i32_e32 vcc, 1, v7
	v_cndmask_b32_e32 v5, v9, v5, vcc
	v_and_b32_e32 v9, 7, v5
	v_cmp_lt_i32_e32 vcc, 5, v9
	v_cmp_eq_u32_e64 s[0:1], 3, v9
	v_lshrrev_b32_e32 v5, 2, v5
	s_or_b64 vcc, s[0:1], vcc
	v_addc_co_u32_e32 v5, vcc, 0, v5, vcc
	v_cmp_gt_i32_e32 vcc, 31, v7
	v_cndmask_b32_e32 v5, v6, v5, vcc
	v_cmp_ne_u32_e32 vcc, 0, v4
	v_cndmask_b32_e64 v4, 0, 1, vcc
	v_lshl_or_b32 v4, v4, 9, v6
	v_cmp_eq_u32_e32 vcc, s16, v7
	v_cndmask_b32_e32 v4, v5, v4, vcc
	v_lshrrev_b32_e32 v5, 16, v8
	v_and_or_b32 v4, v5, s10, v4
	v_and_b32_e32 v2, 0xffff, v2
	v_lshl_or_b32 v2, v4, 16, v2
	v_mov_b32_e32 v4, s2
	v_add_co_u32_e32 v0, vcc, s3, v0
	v_addc_co_u32_e32 v1, vcc, v1, v4, vcc
	global_store_dword v[0:1], v2, off
	global_load_dword v2, v33, s[6:7] offset:3120
	v_lshrrev_b32_e32 v7, 16, v3
	s_waitcnt vmcnt(0)
	v_mul_f16_sdwa v4, v7, v2 dst_sel:DWORD dst_unused:UNUSED_PAD src0_sel:DWORD src1_sel:WORD_1
	v_fma_f16 v4, v3, v2, v4
	v_cvt_f32_f16_e32 v4, v4
	v_mul_f16_sdwa v3, v3, v2 dst_sel:DWORD dst_unused:UNUSED_PAD src0_sel:DWORD src1_sel:WORD_1
	v_fma_f16 v2, v2, v7, -v3
	v_cvt_f32_f16_e32 v2, v2
	v_cvt_f64_f32_e32 v[4:5], v4
	v_cvt_f64_f32_e32 v[2:3], v2
	v_mul_f64 v[4:5], v[4:5], s[14:15]
	v_mul_f64 v[2:3], v[2:3], s[14:15]
	v_and_or_b32 v4, v5, s18, v4
	v_cmp_ne_u32_e32 vcc, 0, v4
	v_cndmask_b32_e64 v4, 0, 1, vcc
	v_lshrrev_b32_e32 v8, 8, v5
	v_bfe_u32 v9, v5, 20, 11
	v_and_or_b32 v4, v8, s17, v4
	v_sub_u32_e32 v10, 0x3f1, v9
	v_or_b32_e32 v8, 0x1000, v4
	v_med3_i32 v10, v10, 0, 13
	v_lshrrev_b32_e32 v11, v10, v8
	v_lshlrev_b32_e32 v10, v10, v11
	v_cmp_ne_u32_e32 vcc, v10, v8
	v_cndmask_b32_e64 v8, 0, 1, vcc
	v_add_u32_e32 v9, 0xfffffc10, v9
	v_or_b32_e32 v8, v11, v8
	v_lshl_or_b32 v10, v9, 12, v4
	v_cmp_gt_i32_e32 vcc, 1, v9
	v_cndmask_b32_e32 v8, v10, v8, vcc
	v_and_b32_e32 v10, 7, v8
	v_cmp_lt_i32_e32 vcc, 5, v10
	v_cmp_eq_u32_e64 s[0:1], 3, v10
	v_lshrrev_b32_e32 v7, 2, v8
	s_or_b64 vcc, s[0:1], vcc
	v_addc_co_u32_e32 v7, vcc, 0, v7, vcc
	v_cmp_gt_i32_e32 vcc, 31, v9
	v_cndmask_b32_e32 v7, v6, v7, vcc
	v_cmp_ne_u32_e32 vcc, 0, v4
	v_cndmask_b32_e64 v4, 0, 1, vcc
	v_lshl_or_b32 v4, v4, 9, v6
	v_cmp_eq_u32_e32 vcc, s16, v9
	v_and_or_b32 v2, v3, s18, v2
	v_cndmask_b32_e32 v4, v7, v4, vcc
	v_lshrrev_b32_e32 v5, 16, v5
	v_cmp_ne_u32_e32 vcc, 0, v2
	v_and_or_b32 v4, v5, s10, v4
	v_cndmask_b32_e64 v2, 0, 1, vcc
	v_lshrrev_b32_e32 v5, 8, v3
	v_bfe_u32 v7, v3, 20, 11
	v_and_or_b32 v2, v5, s17, v2
	v_sub_u32_e32 v8, 0x3f1, v7
	v_or_b32_e32 v5, 0x1000, v2
	v_med3_i32 v8, v8, 0, 13
	v_lshrrev_b32_e32 v9, v8, v5
	v_lshlrev_b32_e32 v8, v8, v9
	v_cmp_ne_u32_e32 vcc, v8, v5
	v_cndmask_b32_e64 v5, 0, 1, vcc
	v_add_u32_e32 v7, 0xfffffc10, v7
	v_or_b32_e32 v5, v9, v5
	v_lshl_or_b32 v8, v7, 12, v2
	v_cmp_gt_i32_e32 vcc, 1, v7
	v_cndmask_b32_e32 v5, v8, v5, vcc
	v_and_b32_e32 v8, 7, v5
	v_cmp_lt_i32_e32 vcc, 5, v8
	v_cmp_eq_u32_e64 s[0:1], 3, v8
	v_lshrrev_b32_e32 v5, 2, v5
	s_or_b64 vcc, s[0:1], vcc
	v_addc_co_u32_e32 v5, vcc, 0, v5, vcc
	v_cmp_gt_i32_e32 vcc, 31, v7
	v_cndmask_b32_e32 v5, v6, v5, vcc
	v_cmp_ne_u32_e32 vcc, 0, v2
	v_cndmask_b32_e64 v2, 0, 1, vcc
	v_lshl_or_b32 v2, v2, 9, v6
	v_cmp_eq_u32_e32 vcc, s16, v7
	v_cndmask_b32_e32 v2, v5, v2, vcc
	v_lshrrev_b32_e32 v3, 16, v3
	v_and_or_b32 v2, v3, s10, v2
	v_and_b32_e32 v3, 0xffff, v4
	v_lshl_or_b32 v2, v2, 16, v3
	v_mov_b32_e32 v3, s2
	v_add_co_u32_e32 v0, vcc, s3, v0
	v_addc_co_u32_e32 v1, vcc, v1, v3, vcc
	global_store_dword v[0:1], v2, off
	global_load_dword v7, v33, s[6:7] offset:3360
	v_add_u32_e32 v2, 0xc00, v33
	ds_read2_b32 v[2:3], v2 offset0:72 offset1:132
	s_waitcnt lgkmcnt(0)
	v_lshrrev_b32_e32 v8, 16, v2
	s_waitcnt vmcnt(0)
	v_mul_f16_sdwa v4, v8, v7 dst_sel:DWORD dst_unused:UNUSED_PAD src0_sel:DWORD src1_sel:WORD_1
	v_fma_f16 v4, v2, v7, v4
	v_cvt_f32_f16_e32 v4, v4
	v_mul_f16_sdwa v2, v2, v7 dst_sel:DWORD dst_unused:UNUSED_PAD src0_sel:DWORD src1_sel:WORD_1
	v_fma_f16 v2, v7, v8, -v2
	v_cvt_f32_f16_e32 v2, v2
	v_cvt_f64_f32_e32 v[4:5], v4
	v_cvt_f64_f32_e32 v[7:8], v2
	v_mul_f64 v[4:5], v[4:5], s[14:15]
	v_mul_f64 v[7:8], v[7:8], s[14:15]
	v_and_or_b32 v4, v5, s18, v4
	v_cmp_ne_u32_e32 vcc, 0, v4
	v_cndmask_b32_e64 v4, 0, 1, vcc
	v_lshrrev_b32_e32 v9, 8, v5
	v_bfe_u32 v10, v5, 20, 11
	v_and_or_b32 v4, v9, s17, v4
	v_sub_u32_e32 v11, 0x3f1, v10
	v_or_b32_e32 v9, 0x1000, v4
	v_med3_i32 v11, v11, 0, 13
	v_lshrrev_b32_e32 v12, v11, v9
	v_lshlrev_b32_e32 v11, v11, v12
	v_cmp_ne_u32_e32 vcc, v11, v9
	v_cndmask_b32_e64 v9, 0, 1, vcc
	v_add_u32_e32 v10, 0xfffffc10, v10
	v_or_b32_e32 v9, v12, v9
	v_lshl_or_b32 v11, v10, 12, v4
	v_cmp_gt_i32_e32 vcc, 1, v10
	v_cndmask_b32_e32 v9, v11, v9, vcc
	v_and_b32_e32 v11, 7, v9
	v_cmp_lt_i32_e32 vcc, 5, v11
	v_cmp_eq_u32_e64 s[0:1], 3, v11
	v_lshrrev_b32_e32 v9, 2, v9
	s_or_b64 vcc, s[0:1], vcc
	v_addc_co_u32_e32 v2, vcc, 0, v9, vcc
	v_cmp_gt_i32_e32 vcc, 31, v10
	v_cndmask_b32_e32 v2, v6, v2, vcc
	v_cmp_ne_u32_e32 vcc, 0, v4
	v_cndmask_b32_e64 v4, 0, 1, vcc
	v_lshl_or_b32 v4, v4, 9, v6
	v_cmp_eq_u32_e32 vcc, s16, v10
	v_cndmask_b32_e32 v2, v2, v4, vcc
	v_lshrrev_b32_e32 v4, 16, v5
	v_and_or_b32 v2, v4, s10, v2
	v_and_or_b32 v4, v8, s18, v7
	v_cmp_ne_u32_e32 vcc, 0, v4
	v_cndmask_b32_e64 v4, 0, 1, vcc
	v_lshrrev_b32_e32 v5, 8, v8
	v_bfe_u32 v7, v8, 20, 11
	v_and_or_b32 v4, v5, s17, v4
	v_sub_u32_e32 v9, 0x3f1, v7
	v_or_b32_e32 v5, 0x1000, v4
	v_med3_i32 v9, v9, 0, 13
	v_lshrrev_b32_e32 v10, v9, v5
	v_lshlrev_b32_e32 v9, v9, v10
	v_cmp_ne_u32_e32 vcc, v9, v5
	v_cndmask_b32_e64 v5, 0, 1, vcc
	v_add_u32_e32 v7, 0xfffffc10, v7
	v_or_b32_e32 v5, v10, v5
	v_lshl_or_b32 v9, v7, 12, v4
	v_cmp_gt_i32_e32 vcc, 1, v7
	v_cndmask_b32_e32 v5, v9, v5, vcc
	v_and_b32_e32 v9, 7, v5
	v_cmp_lt_i32_e32 vcc, 5, v9
	v_cmp_eq_u32_e64 s[0:1], 3, v9
	v_lshrrev_b32_e32 v5, 2, v5
	s_or_b64 vcc, s[0:1], vcc
	v_addc_co_u32_e32 v5, vcc, 0, v5, vcc
	v_cmp_gt_i32_e32 vcc, 31, v7
	v_cndmask_b32_e32 v5, v6, v5, vcc
	v_cmp_ne_u32_e32 vcc, 0, v4
	v_cndmask_b32_e64 v4, 0, 1, vcc
	v_lshl_or_b32 v4, v4, 9, v6
	v_cmp_eq_u32_e32 vcc, s16, v7
	v_cndmask_b32_e32 v4, v5, v4, vcc
	v_lshrrev_b32_e32 v5, 16, v8
	v_and_or_b32 v4, v5, s10, v4
	v_and_b32_e32 v2, 0xffff, v2
	v_lshl_or_b32 v2, v4, 16, v2
	v_mov_b32_e32 v4, s2
	v_add_co_u32_e32 v0, vcc, s3, v0
	v_addc_co_u32_e32 v1, vcc, v1, v4, vcc
	global_store_dword v[0:1], v2, off
	global_load_dword v2, v33, s[6:7] offset:3600
	v_lshrrev_b32_e32 v7, 16, v3
	s_waitcnt vmcnt(0)
	v_mul_f16_sdwa v4, v7, v2 dst_sel:DWORD dst_unused:UNUSED_PAD src0_sel:DWORD src1_sel:WORD_1
	v_fma_f16 v4, v3, v2, v4
	v_cvt_f32_f16_e32 v4, v4
	v_mul_f16_sdwa v3, v3, v2 dst_sel:DWORD dst_unused:UNUSED_PAD src0_sel:DWORD src1_sel:WORD_1
	v_fma_f16 v2, v2, v7, -v3
	v_cvt_f32_f16_e32 v2, v2
	v_cvt_f64_f32_e32 v[4:5], v4
	v_cvt_f64_f32_e32 v[2:3], v2
	v_mul_f64 v[4:5], v[4:5], s[14:15]
	v_mul_f64 v[2:3], v[2:3], s[14:15]
	v_and_or_b32 v4, v5, s18, v4
	v_cmp_ne_u32_e32 vcc, 0, v4
	v_cndmask_b32_e64 v4, 0, 1, vcc
	v_lshrrev_b32_e32 v8, 8, v5
	v_bfe_u32 v9, v5, 20, 11
	v_and_or_b32 v4, v8, s17, v4
	v_sub_u32_e32 v10, 0x3f1, v9
	v_or_b32_e32 v8, 0x1000, v4
	v_med3_i32 v10, v10, 0, 13
	v_lshrrev_b32_e32 v11, v10, v8
	v_lshlrev_b32_e32 v10, v10, v11
	v_cmp_ne_u32_e32 vcc, v10, v8
	v_cndmask_b32_e64 v8, 0, 1, vcc
	v_add_u32_e32 v9, 0xfffffc10, v9
	v_or_b32_e32 v8, v11, v8
	v_lshl_or_b32 v10, v9, 12, v4
	v_cmp_gt_i32_e32 vcc, 1, v9
	v_cndmask_b32_e32 v8, v10, v8, vcc
	v_and_b32_e32 v10, 7, v8
	v_cmp_lt_i32_e32 vcc, 5, v10
	v_cmp_eq_u32_e64 s[0:1], 3, v10
	v_lshrrev_b32_e32 v7, 2, v8
	s_or_b64 vcc, s[0:1], vcc
	v_addc_co_u32_e32 v7, vcc, 0, v7, vcc
	v_cmp_gt_i32_e32 vcc, 31, v9
	v_cndmask_b32_e32 v7, v6, v7, vcc
	v_cmp_ne_u32_e32 vcc, 0, v4
	v_cndmask_b32_e64 v4, 0, 1, vcc
	v_lshl_or_b32 v4, v4, 9, v6
	v_cmp_eq_u32_e32 vcc, s16, v9
	v_and_or_b32 v2, v3, s18, v2
	v_cndmask_b32_e32 v4, v7, v4, vcc
	v_lshrrev_b32_e32 v5, 16, v5
	v_cmp_ne_u32_e32 vcc, 0, v2
	v_and_or_b32 v4, v5, s10, v4
	v_cndmask_b32_e64 v2, 0, 1, vcc
	v_lshrrev_b32_e32 v5, 8, v3
	v_bfe_u32 v7, v3, 20, 11
	v_and_or_b32 v2, v5, s17, v2
	v_sub_u32_e32 v8, 0x3f1, v7
	v_or_b32_e32 v5, 0x1000, v2
	v_med3_i32 v8, v8, 0, 13
	v_lshrrev_b32_e32 v9, v8, v5
	v_lshlrev_b32_e32 v8, v8, v9
	v_cmp_ne_u32_e32 vcc, v8, v5
	v_cndmask_b32_e64 v5, 0, 1, vcc
	v_add_u32_e32 v7, 0xfffffc10, v7
	v_or_b32_e32 v5, v9, v5
	v_lshl_or_b32 v8, v7, 12, v2
	v_cmp_gt_i32_e32 vcc, 1, v7
	v_cndmask_b32_e32 v5, v8, v5, vcc
	v_and_b32_e32 v8, 7, v5
	v_cmp_lt_i32_e32 vcc, 5, v8
	v_cmp_eq_u32_e64 s[0:1], 3, v8
	v_lshrrev_b32_e32 v5, 2, v5
	s_or_b64 vcc, s[0:1], vcc
	v_addc_co_u32_e32 v5, vcc, 0, v5, vcc
	v_cmp_gt_i32_e32 vcc, 31, v7
	v_cndmask_b32_e32 v5, v6, v5, vcc
	v_cmp_ne_u32_e32 vcc, 0, v2
	v_cndmask_b32_e64 v2, 0, 1, vcc
	v_lshl_or_b32 v2, v2, 9, v6
	v_cmp_eq_u32_e32 vcc, s16, v7
	v_cndmask_b32_e32 v2, v5, v2, vcc
	v_lshrrev_b32_e32 v3, 16, v3
	v_and_or_b32 v2, v3, s10, v2
	v_and_b32_e32 v3, 0xffff, v4
	v_lshl_or_b32 v2, v2, 16, v3
	v_mov_b32_e32 v3, s2
	v_add_co_u32_e32 v0, vcc, s3, v0
	v_addc_co_u32_e32 v1, vcc, v1, v3, vcc
	global_store_dword v[0:1], v2, off
.LBB0_23:
	s_endpgm
	.section	.rodata,"a",@progbits
	.p2align	6, 0x0
	.amdhsa_kernel bluestein_single_fwd_len960_dim1_half_op_CI_CI
		.amdhsa_group_segment_fixed_size 3840
		.amdhsa_private_segment_fixed_size 0
		.amdhsa_kernarg_size 104
		.amdhsa_user_sgpr_count 6
		.amdhsa_user_sgpr_private_segment_buffer 1
		.amdhsa_user_sgpr_dispatch_ptr 0
		.amdhsa_user_sgpr_queue_ptr 0
		.amdhsa_user_sgpr_kernarg_segment_ptr 1
		.amdhsa_user_sgpr_dispatch_id 0
		.amdhsa_user_sgpr_flat_scratch_init 0
		.amdhsa_user_sgpr_private_segment_size 0
		.amdhsa_uses_dynamic_stack 0
		.amdhsa_system_sgpr_private_segment_wavefront_offset 0
		.amdhsa_system_sgpr_workgroup_id_x 1
		.amdhsa_system_sgpr_workgroup_id_y 0
		.amdhsa_system_sgpr_workgroup_id_z 0
		.amdhsa_system_sgpr_workgroup_info 0
		.amdhsa_system_vgpr_workitem_id 0
		.amdhsa_next_free_vgpr 71
		.amdhsa_next_free_sgpr 20
		.amdhsa_reserve_vcc 1
		.amdhsa_reserve_flat_scratch 0
		.amdhsa_float_round_mode_32 0
		.amdhsa_float_round_mode_16_64 0
		.amdhsa_float_denorm_mode_32 3
		.amdhsa_float_denorm_mode_16_64 3
		.amdhsa_dx10_clamp 1
		.amdhsa_ieee_mode 1
		.amdhsa_fp16_overflow 0
		.amdhsa_exception_fp_ieee_invalid_op 0
		.amdhsa_exception_fp_denorm_src 0
		.amdhsa_exception_fp_ieee_div_zero 0
		.amdhsa_exception_fp_ieee_overflow 0
		.amdhsa_exception_fp_ieee_underflow 0
		.amdhsa_exception_fp_ieee_inexact 0
		.amdhsa_exception_int_div_zero 0
	.end_amdhsa_kernel
	.text
.Lfunc_end0:
	.size	bluestein_single_fwd_len960_dim1_half_op_CI_CI, .Lfunc_end0-bluestein_single_fwd_len960_dim1_half_op_CI_CI
                                        ; -- End function
	.section	.AMDGPU.csdata,"",@progbits
; Kernel info:
; codeLenInByte = 18084
; NumSgprs: 24
; NumVgprs: 71
; ScratchSize: 0
; MemoryBound: 0
; FloatMode: 240
; IeeeMode: 1
; LDSByteSize: 3840 bytes/workgroup (compile time only)
; SGPRBlocks: 2
; VGPRBlocks: 17
; NumSGPRsForWavesPerEU: 24
; NumVGPRsForWavesPerEU: 71
; Occupancy: 3
; WaveLimiterHint : 1
; COMPUTE_PGM_RSRC2:SCRATCH_EN: 0
; COMPUTE_PGM_RSRC2:USER_SGPR: 6
; COMPUTE_PGM_RSRC2:TRAP_HANDLER: 0
; COMPUTE_PGM_RSRC2:TGID_X_EN: 1
; COMPUTE_PGM_RSRC2:TGID_Y_EN: 0
; COMPUTE_PGM_RSRC2:TGID_Z_EN: 0
; COMPUTE_PGM_RSRC2:TIDIG_COMP_CNT: 0
	.type	__hip_cuid_6821b0575015fe1,@object ; @__hip_cuid_6821b0575015fe1
	.section	.bss,"aw",@nobits
	.globl	__hip_cuid_6821b0575015fe1
__hip_cuid_6821b0575015fe1:
	.byte	0                               ; 0x0
	.size	__hip_cuid_6821b0575015fe1, 1

	.ident	"AMD clang version 19.0.0git (https://github.com/RadeonOpenCompute/llvm-project roc-6.4.0 25133 c7fe45cf4b819c5991fe208aaa96edf142730f1d)"
	.section	".note.GNU-stack","",@progbits
	.addrsig
	.addrsig_sym __hip_cuid_6821b0575015fe1
	.amdgpu_metadata
---
amdhsa.kernels:
  - .args:
      - .actual_access:  read_only
        .address_space:  global
        .offset:         0
        .size:           8
        .value_kind:     global_buffer
      - .actual_access:  read_only
        .address_space:  global
        .offset:         8
        .size:           8
        .value_kind:     global_buffer
      - .actual_access:  read_only
        .address_space:  global
        .offset:         16
        .size:           8
        .value_kind:     global_buffer
      - .actual_access:  read_only
        .address_space:  global
        .offset:         24
        .size:           8
        .value_kind:     global_buffer
      - .actual_access:  read_only
        .address_space:  global
        .offset:         32
        .size:           8
        .value_kind:     global_buffer
      - .offset:         40
        .size:           8
        .value_kind:     by_value
      - .address_space:  global
        .offset:         48
        .size:           8
        .value_kind:     global_buffer
      - .address_space:  global
        .offset:         56
        .size:           8
        .value_kind:     global_buffer
      - .address_space:  global
        .offset:         64
        .size:           8
        .value_kind:     global_buffer
      - .address_space:  global
        .offset:         72
        .size:           8
        .value_kind:     global_buffer
      - .offset:         80
        .size:           4
        .value_kind:     by_value
      - .address_space:  global
        .offset:         88
        .size:           8
        .value_kind:     global_buffer
      - .address_space:  global
        .offset:         96
        .size:           8
        .value_kind:     global_buffer
    .group_segment_fixed_size: 3840
    .kernarg_segment_align: 8
    .kernarg_segment_size: 104
    .language:       OpenCL C
    .language_version:
      - 2
      - 0
    .max_flat_workgroup_size: 160
    .name:           bluestein_single_fwd_len960_dim1_half_op_CI_CI
    .private_segment_fixed_size: 0
    .sgpr_count:     24
    .sgpr_spill_count: 0
    .symbol:         bluestein_single_fwd_len960_dim1_half_op_CI_CI.kd
    .uniform_work_group_size: 1
    .uses_dynamic_stack: false
    .vgpr_count:     71
    .vgpr_spill_count: 0
    .wavefront_size: 64
amdhsa.target:   amdgcn-amd-amdhsa--gfx906
amdhsa.version:
  - 1
  - 2
...

	.end_amdgpu_metadata
